;; amdgpu-corpus repo=ROCm/rocFFT kind=compiled arch=gfx950 opt=O3
	.text
	.amdgcn_target "amdgcn-amd-amdhsa--gfx950"
	.amdhsa_code_object_version 6
	.protected	fft_rtc_back_len480_factors_10_8_6_wgs_64_tpt_16_halfLds_dp_op_CI_CI_sbrr_dirReg ; -- Begin function fft_rtc_back_len480_factors_10_8_6_wgs_64_tpt_16_halfLds_dp_op_CI_CI_sbrr_dirReg
	.globl	fft_rtc_back_len480_factors_10_8_6_wgs_64_tpt_16_halfLds_dp_op_CI_CI_sbrr_dirReg
	.p2align	8
	.type	fft_rtc_back_len480_factors_10_8_6_wgs_64_tpt_16_halfLds_dp_op_CI_CI_sbrr_dirReg,@function
fft_rtc_back_len480_factors_10_8_6_wgs_64_tpt_16_halfLds_dp_op_CI_CI_sbrr_dirReg: ; @fft_rtc_back_len480_factors_10_8_6_wgs_64_tpt_16_halfLds_dp_op_CI_CI_sbrr_dirReg
; %bb.0:
	s_load_dwordx4 s[12:15], s[0:1], 0x18
	s_load_dwordx4 s[8:11], s[0:1], 0x0
	;; [unrolled: 1-line block ×3, first 2 shown]
	v_lshrrev_b32_e32 v74, 4, v0
	v_lshl_or_b32 v6, s2, 2, v74
	s_waitcnt lgkmcnt(0)
	s_load_dwordx2 s[18:19], s[12:13], 0x0
	s_load_dwordx2 s[16:17], s[14:15], 0x0
	v_mov_b32_e32 v2, 0
	v_cmp_lt_u64_e64 s[2:3], s[10:11], 2
	v_mov_b32_e32 v7, v2
	s_and_b64 vcc, exec, s[2:3]
	v_mov_b64_e32 v[4:5], 0
	s_cbranch_vccnz .LBB0_8
; %bb.1:
	s_load_dwordx2 s[2:3], s[0:1], 0x10
	s_add_u32 s20, s14, 8
	s_addc_u32 s21, s15, 0
	s_add_u32 s22, s12, 8
	s_addc_u32 s23, s13, 0
	s_waitcnt lgkmcnt(0)
	s_add_u32 s24, s2, 8
	v_mov_b64_e32 v[4:5], 0
	s_addc_u32 s25, s3, 0
	s_mov_b64 s[26:27], 1
	v_mov_b64_e32 v[190:191], v[4:5]
.LBB0_2:                                ; =>This Inner Loop Header: Depth=1
	s_load_dwordx2 s[28:29], s[24:25], 0x0
                                        ; implicit-def: $vgpr192_vgpr193
	s_waitcnt lgkmcnt(0)
	v_or_b32_e32 v3, s29, v7
	v_cmp_ne_u64_e32 vcc, 0, v[2:3]
	s_and_saveexec_b64 s[2:3], vcc
	s_xor_b64 s[30:31], exec, s[2:3]
	s_cbranch_execz .LBB0_4
; %bb.3:                                ;   in Loop: Header=BB0_2 Depth=1
	v_cvt_f32_u32_e32 v1, s28
	v_cvt_f32_u32_e32 v3, s29
	s_sub_u32 s2, 0, s28
	s_subb_u32 s3, 0, s29
	v_fmac_f32_e32 v1, 0x4f800000, v3
	v_rcp_f32_e32 v1, v1
	s_nop 0
	v_mul_f32_e32 v1, 0x5f7ffffc, v1
	v_mul_f32_e32 v3, 0x2f800000, v1
	v_trunc_f32_e32 v3, v3
	v_fmac_f32_e32 v1, 0xcf800000, v3
	v_cvt_u32_f32_e32 v3, v3
	v_cvt_u32_f32_e32 v1, v1
	v_mul_lo_u32 v8, s2, v3
	v_mul_hi_u32 v10, s2, v1
	v_mul_lo_u32 v9, s3, v1
	v_add_u32_e32 v10, v10, v8
	v_mul_lo_u32 v12, s2, v1
	v_add_u32_e32 v13, v10, v9
	v_mul_hi_u32 v8, v1, v12
	v_mul_hi_u32 v11, v1, v13
	v_mul_lo_u32 v10, v1, v13
	v_mov_b32_e32 v9, v2
	v_lshl_add_u64 v[8:9], v[8:9], 0, v[10:11]
	v_mul_hi_u32 v11, v3, v12
	v_mul_lo_u32 v12, v3, v12
	v_add_co_u32_e32 v8, vcc, v8, v12
	v_mul_hi_u32 v10, v3, v13
	s_nop 0
	v_addc_co_u32_e32 v8, vcc, v9, v11, vcc
	v_mov_b32_e32 v9, v2
	s_nop 0
	v_addc_co_u32_e32 v11, vcc, 0, v10, vcc
	v_mul_lo_u32 v10, v3, v13
	v_lshl_add_u64 v[8:9], v[8:9], 0, v[10:11]
	v_add_co_u32_e32 v1, vcc, v1, v8
	v_mul_lo_u32 v10, s2, v1
	s_nop 0
	v_addc_co_u32_e32 v3, vcc, v3, v9, vcc
	v_mul_lo_u32 v8, s2, v3
	v_mul_hi_u32 v9, s2, v1
	v_add_u32_e32 v8, v9, v8
	v_mul_lo_u32 v9, s3, v1
	v_add_u32_e32 v12, v8, v9
	v_mul_hi_u32 v14, v3, v10
	v_mul_lo_u32 v15, v3, v10
	v_mul_hi_u32 v9, v1, v12
	v_mul_lo_u32 v8, v1, v12
	v_mul_hi_u32 v10, v1, v10
	v_mov_b32_e32 v11, v2
	v_lshl_add_u64 v[8:9], v[10:11], 0, v[8:9]
	v_add_co_u32_e32 v8, vcc, v8, v15
	v_mul_hi_u32 v13, v3, v12
	s_nop 0
	v_addc_co_u32_e32 v8, vcc, v9, v14, vcc
	v_mul_lo_u32 v10, v3, v12
	s_nop 0
	v_addc_co_u32_e32 v11, vcc, 0, v13, vcc
	v_mov_b32_e32 v9, v2
	v_lshl_add_u64 v[8:9], v[8:9], 0, v[10:11]
	v_add_co_u32_e32 v1, vcc, v1, v8
	v_mul_hi_u32 v10, v6, v1
	s_nop 0
	v_addc_co_u32_e32 v3, vcc, v3, v9, vcc
	v_mad_u64_u32 v[8:9], s[2:3], v6, v3, 0
	v_mov_b32_e32 v11, v2
	v_lshl_add_u64 v[8:9], v[10:11], 0, v[8:9]
	v_mad_u64_u32 v[12:13], s[2:3], v7, v1, 0
	v_add_co_u32_e32 v1, vcc, v8, v12
	v_mad_u64_u32 v[10:11], s[2:3], v7, v3, 0
	s_nop 0
	v_addc_co_u32_e32 v8, vcc, v9, v13, vcc
	v_mov_b32_e32 v9, v2
	s_nop 0
	v_addc_co_u32_e32 v11, vcc, 0, v11, vcc
	v_lshl_add_u64 v[8:9], v[8:9], 0, v[10:11]
	v_mul_lo_u32 v1, s29, v8
	v_mul_lo_u32 v3, s28, v9
	v_mad_u64_u32 v[10:11], s[2:3], s28, v8, 0
	v_add3_u32 v1, v11, v3, v1
	v_sub_u32_e32 v3, v7, v1
	v_mov_b32_e32 v11, s29
	v_sub_co_u32_e32 v14, vcc, v6, v10
	v_lshl_add_u64 v[12:13], v[8:9], 0, 1
	s_nop 0
	v_subb_co_u32_e64 v3, s[2:3], v3, v11, vcc
	v_subrev_co_u32_e64 v10, s[2:3], s28, v14
	v_subb_co_u32_e32 v1, vcc, v7, v1, vcc
	s_nop 0
	v_subbrev_co_u32_e64 v3, s[2:3], 0, v3, s[2:3]
	v_cmp_le_u32_e64 s[2:3], s29, v3
	v_cmp_le_u32_e32 vcc, s29, v1
	s_nop 0
	v_cndmask_b32_e64 v11, 0, -1, s[2:3]
	v_cmp_le_u32_e64 s[2:3], s28, v10
	s_nop 1
	v_cndmask_b32_e64 v10, 0, -1, s[2:3]
	v_cmp_eq_u32_e64 s[2:3], s29, v3
	s_nop 1
	v_cndmask_b32_e64 v3, v11, v10, s[2:3]
	v_lshl_add_u64 v[10:11], v[8:9], 0, 2
	v_cmp_ne_u32_e64 s[2:3], 0, v3
	s_nop 1
	v_cndmask_b32_e64 v3, v13, v11, s[2:3]
	v_cndmask_b32_e64 v11, 0, -1, vcc
	v_cmp_le_u32_e32 vcc, s28, v14
	s_nop 1
	v_cndmask_b32_e64 v13, 0, -1, vcc
	v_cmp_eq_u32_e32 vcc, s29, v1
	s_nop 1
	v_cndmask_b32_e32 v1, v11, v13, vcc
	v_cmp_ne_u32_e32 vcc, 0, v1
	v_cndmask_b32_e64 v1, v12, v10, s[2:3]
	s_nop 0
	v_cndmask_b32_e32 v193, v9, v3, vcc
	v_cndmask_b32_e32 v192, v8, v1, vcc
.LBB0_4:                                ;   in Loop: Header=BB0_2 Depth=1
	s_andn2_saveexec_b64 s[2:3], s[30:31]
	s_cbranch_execz .LBB0_6
; %bb.5:                                ;   in Loop: Header=BB0_2 Depth=1
	v_cvt_f32_u32_e32 v1, s28
	s_sub_i32 s30, 0, s28
	v_mov_b32_e32 v193, v2
	v_rcp_iflag_f32_e32 v1, v1
	s_nop 0
	v_mul_f32_e32 v1, 0x4f7ffffe, v1
	v_cvt_u32_f32_e32 v1, v1
	v_mul_lo_u32 v3, s30, v1
	v_mul_hi_u32 v3, v1, v3
	v_add_u32_e32 v1, v1, v3
	v_mul_hi_u32 v1, v6, v1
	v_mul_lo_u32 v3, v1, s28
	v_sub_u32_e32 v3, v6, v3
	v_add_u32_e32 v8, 1, v1
	v_subrev_u32_e32 v9, s28, v3
	v_cmp_le_u32_e32 vcc, s28, v3
	s_nop 1
	v_cndmask_b32_e32 v3, v3, v9, vcc
	v_cndmask_b32_e32 v1, v1, v8, vcc
	v_add_u32_e32 v8, 1, v1
	v_cmp_le_u32_e32 vcc, s28, v3
	s_nop 1
	v_cndmask_b32_e32 v192, v1, v8, vcc
.LBB0_6:                                ;   in Loop: Header=BB0_2 Depth=1
	s_or_b64 exec, exec, s[2:3]
	v_mad_u64_u32 v[8:9], s[2:3], v192, s28, 0
	s_load_dwordx2 s[2:3], s[22:23], 0x0
	v_mul_lo_u32 v1, v193, s28
	v_mul_lo_u32 v3, v192, s29
	s_load_dwordx2 s[28:29], s[20:21], 0x0
	s_add_u32 s26, s26, 1
	v_add3_u32 v1, v9, v3, v1
	v_sub_co_u32_e32 v3, vcc, v6, v8
	s_addc_u32 s27, s27, 0
	s_nop 0
	v_subb_co_u32_e32 v1, vcc, v7, v1, vcc
	s_add_u32 s20, s20, 8
	s_waitcnt lgkmcnt(0)
	v_mul_lo_u32 v6, s2, v1
	v_mul_lo_u32 v7, s3, v3
	v_mad_u64_u32 v[4:5], s[2:3], s2, v3, v[4:5]
	s_addc_u32 s21, s21, 0
	v_add3_u32 v5, v7, v5, v6
	v_mul_lo_u32 v1, s28, v1
	v_mul_lo_u32 v6, s29, v3
	v_mad_u64_u32 v[190:191], s[2:3], s28, v3, v[190:191]
	s_add_u32 s22, s22, 8
	v_add3_u32 v191, v6, v191, v1
	s_addc_u32 s23, s23, 0
	v_mov_b64_e32 v[6:7], s[10:11]
	s_add_u32 s24, s24, 8
	v_cmp_ge_u64_e32 vcc, s[26:27], v[6:7]
	s_addc_u32 s25, s25, 0
	s_cbranch_vccnz .LBB0_9
; %bb.7:                                ;   in Loop: Header=BB0_2 Depth=1
	v_mov_b64_e32 v[6:7], v[192:193]
	s_branch .LBB0_2
.LBB0_8:
	v_mov_b64_e32 v[190:191], v[4:5]
	v_mov_b64_e32 v[192:193], v[6:7]
.LBB0_9:
	s_load_dwordx2 s[0:1], s[0:1], 0x28
	s_lshl_b64 s[10:11], s[10:11], 3
	s_add_u32 s2, s14, s10
	s_addc_u32 s3, s15, s11
	v_and_b32_e32 v210, 15, v0
	s_waitcnt lgkmcnt(0)
	v_cmp_gt_u64_e32 vcc, s[0:1], v[192:193]
	v_cmp_le_u64_e64 s[0:1], s[0:1], v[192:193]
                                        ; implicit-def: $vgpr211
                                        ; implicit-def: $vgpr213
                                        ; implicit-def: $vgpr212
	s_and_saveexec_b64 s[14:15], s[0:1]
	s_xor_b64 s[0:1], exec, s[14:15]
; %bb.10:
	v_and_b32_e32 v210, 15, v0
	v_or_b32_e32 v211, 16, v210
	v_or_b32_e32 v213, 32, v210
	;; [unrolled: 1-line block ×3, first 2 shown]
                                        ; implicit-def: $vgpr4_vgpr5
; %bb.11:
	s_or_saveexec_b64 s[0:1], s[0:1]
                                        ; implicit-def: $vgpr98_vgpr99
                                        ; implicit-def: $vgpr108_vgpr109
                                        ; implicit-def: $vgpr116_vgpr117
                                        ; implicit-def: $vgpr120_vgpr121
                                        ; implicit-def: $vgpr112_vgpr113
                                        ; implicit-def: $vgpr56_vgpr57
                                        ; implicit-def: $vgpr64_vgpr65
                                        ; implicit-def: $vgpr82_vgpr83
                                        ; implicit-def: $vgpr72_vgpr73
                                        ; implicit-def: $vgpr78_vgpr79
                                        ; implicit-def: $vgpr16_vgpr17
                                        ; implicit-def: $vgpr32_vgpr33
                                        ; implicit-def: $vgpr24_vgpr25
                                        ; implicit-def: $vgpr36_vgpr37
                                        ; implicit-def: $vgpr60_vgpr61
                                        ; implicit-def: $vgpr40_vgpr41
                                        ; implicit-def: $vgpr48_vgpr49
                                        ; implicit-def: $vgpr44_vgpr45
                                        ; implicit-def: $vgpr28_vgpr29
                                        ; implicit-def: $vgpr20_vgpr21
                                        ; implicit-def: $vgpr94_vgpr95
                                        ; implicit-def: $vgpr90_vgpr91
                                        ; implicit-def: $vgpr86_vgpr87
                                        ; implicit-def: $vgpr68_vgpr69
                                        ; implicit-def: $vgpr52_vgpr53
                                        ; implicit-def: $vgpr136_vgpr137
                                        ; implicit-def: $vgpr128_vgpr129
                                        ; implicit-def: $vgpr124_vgpr125
                                        ; implicit-def: $vgpr132_vgpr133
                                        ; implicit-def: $vgpr104_vgpr105
	s_xor_b64 exec, exec, s[0:1]
	s_cbranch_execz .LBB0_13
; %bb.12:
	s_add_u32 s10, s12, s10
	s_addc_u32 s11, s13, s11
	s_load_dwordx2 s[10:11], s[10:11], 0x0
	v_or_b32_e32 v212, 48, v210
	v_or_b32_e32 v9, 0x60, v210
	;; [unrolled: 1-line block ×4, first 2 shown]
	s_waitcnt lgkmcnt(0)
	v_mul_lo_u32 v2, s11, v192
	v_mul_lo_u32 v3, s10, v193
	v_mad_u64_u32 v[0:1], s[10:11], s10, v192, 0
	v_add3_u32 v1, v1, v3, v2
	v_mad_u64_u32 v[2:3], s[10:11], s18, v210, 0
	v_mov_b32_e32 v6, v3
	v_lshl_add_u64 v[0:1], v[0:1], 4, s[4:5]
	v_mad_u64_u32 v[6:7], s[10:11], s19, v210, v[6:7]
	v_lshl_add_u64 v[0:1], v[4:5], 4, v[0:1]
	v_mad_u64_u32 v[4:5], s[4:5], s18, v212, 0
	v_mov_b32_e32 v3, v6
	v_mov_b32_e32 v6, v5
	v_mad_u64_u32 v[6:7], s[4:5], s19, v212, v[6:7]
	v_mov_b32_e32 v5, v6
	v_mad_u64_u32 v[6:7], s[4:5], s18, v9, 0
	;; [unrolled: 2-line block ×7, first 2 shown]
	v_or_b32_e32 v15, 0xf0, v210
	v_mov_b32_e32 v11, v12
	v_mad_u64_u32 v[12:13], s[4:5], s18, v15, 0
	v_mov_b32_e32 v14, v13
	v_mad_u64_u32 v[14:15], s[4:5], s19, v15, v[14:15]
	v_or_b32_e32 v17, 0x120, v210
	v_mov_b32_e32 v13, v14
	v_mad_u64_u32 v[14:15], s[4:5], s18, v17, 0
	v_mov_b32_e32 v16, v15
	v_mad_u64_u32 v[16:17], s[4:5], s19, v17, v[16:17]
	v_or_b32_e32 v19, 0x150, v210
	v_mov_b32_e32 v15, v16
	v_mad_u64_u32 v[16:17], s[4:5], s18, v19, 0
	v_mov_b32_e32 v18, v17
	v_mad_u64_u32 v[18:19], s[4:5], s19, v19, v[18:19]
	v_or_b32_e32 v21, 0x180, v210
	v_mov_b32_e32 v17, v18
	v_mad_u64_u32 v[18:19], s[4:5], s18, v21, 0
	v_mov_b32_e32 v20, v19
	v_mad_u64_u32 v[20:21], s[4:5], s19, v21, v[20:21]
	v_or_b32_e32 v23, 0x1b0, v210
	v_mov_b32_e32 v19, v20
	v_mad_u64_u32 v[20:21], s[4:5], s18, v23, 0
	v_mov_b32_e32 v22, v21
	v_mad_u64_u32 v[22:23], s[4:5], s19, v23, v[22:23]
	v_or_b32_e32 v211, 16, v210
	v_mov_b32_e32 v21, v22
	v_mad_u64_u32 v[22:23], s[4:5], s18, v211, 0
	v_mov_b32_e32 v24, v23
	v_mad_u64_u32 v[24:25], s[4:5], s19, v211, v[24:25]
	v_or_b32_e32 v27, 64, v210
	v_mov_b32_e32 v23, v24
	v_mad_u64_u32 v[24:25], s[4:5], s18, v27, 0
	v_mov_b32_e32 v26, v25
	v_mad_u64_u32 v[26:27], s[4:5], s19, v27, v[26:27]
	v_or_b32_e32 v29, 0x70, v210
	v_mov_b32_e32 v25, v26
	v_mad_u64_u32 v[26:27], s[4:5], s18, v29, 0
	v_mov_b32_e32 v28, v27
	v_mad_u64_u32 v[28:29], s[4:5], s19, v29, v[28:29]
	v_or_b32_e32 v31, 0xa0, v210
	v_mov_b32_e32 v27, v28
	v_mad_u64_u32 v[28:29], s[4:5], s18, v31, 0
	v_mov_b32_e32 v30, v29
	v_mad_u64_u32 v[30:31], s[4:5], s19, v31, v[30:31]
	v_or_b32_e32 v33, 0xd0, v210
	v_mov_b32_e32 v29, v30
	v_mad_u64_u32 v[30:31], s[4:5], s18, v33, 0
	v_mov_b32_e32 v32, v31
	v_mad_u64_u32 v[32:33], s[4:5], s19, v33, v[32:33]
	v_or_b32_e32 v35, 0x100, v210
	v_mov_b32_e32 v31, v32
	v_mad_u64_u32 v[32:33], s[4:5], s18, v35, 0
	v_mov_b32_e32 v34, v33
	v_mad_u64_u32 v[34:35], s[4:5], s19, v35, v[34:35]
	v_or_b32_e32 v37, 0x130, v210
	v_mov_b32_e32 v33, v34
	v_mad_u64_u32 v[34:35], s[4:5], s18, v37, 0
	v_mov_b32_e32 v36, v35
	v_mad_u64_u32 v[36:37], s[4:5], s19, v37, v[36:37]
	v_or_b32_e32 v39, 0x160, v210
	v_mov_b32_e32 v35, v36
	v_mad_u64_u32 v[36:37], s[4:5], s18, v39, 0
	v_mov_b32_e32 v38, v37
	v_mad_u64_u32 v[38:39], s[4:5], s19, v39, v[38:39]
	v_or_b32_e32 v41, 0x190, v210
	v_mov_b32_e32 v37, v38
	v_mad_u64_u32 v[38:39], s[4:5], s18, v41, 0
	v_mov_b32_e32 v40, v39
	v_mad_u64_u32 v[40:41], s[4:5], s19, v41, v[40:41]
	v_or_b32_e32 v43, 0x1c0, v210
	v_mov_b32_e32 v39, v40
	v_mad_u64_u32 v[40:41], s[4:5], s18, v43, 0
	v_mov_b32_e32 v42, v41
	v_mad_u64_u32 v[42:43], s[4:5], s19, v43, v[42:43]
	v_or_b32_e32 v213, 32, v210
	v_mov_b32_e32 v41, v42
	v_mad_u64_u32 v[42:43], s[4:5], s18, v213, 0
	v_mov_b32_e32 v44, v43
	v_mad_u64_u32 v[44:45], s[4:5], s19, v213, v[44:45]
	v_or_b32_e32 v47, 0x50, v210
	v_mov_b32_e32 v43, v44
	v_mad_u64_u32 v[44:45], s[4:5], s18, v47, 0
	v_mov_b32_e32 v46, v45
	v_mad_u64_u32 v[46:47], s[4:5], s19, v47, v[46:47]
	v_or_b32_e32 v49, 0x80, v210
	v_mov_b32_e32 v45, v46
	v_mad_u64_u32 v[46:47], s[4:5], s18, v49, 0
	v_mov_b32_e32 v48, v47
	v_mad_u64_u32 v[48:49], s[4:5], s19, v49, v[48:49]
	v_or_b32_e32 v51, 0xb0, v210
	v_mov_b32_e32 v47, v48
	v_mad_u64_u32 v[48:49], s[4:5], s18, v51, 0
	v_mov_b32_e32 v50, v49
	v_mad_u64_u32 v[50:51], s[4:5], s19, v51, v[50:51]
	v_or_b32_e32 v53, 0xe0, v210
	v_mov_b32_e32 v49, v50
	v_mad_u64_u32 v[50:51], s[4:5], s18, v53, 0
	v_mov_b32_e32 v52, v51
	v_mad_u64_u32 v[52:53], s[4:5], s19, v53, v[52:53]
	v_or_b32_e32 v55, 0x110, v210
	v_mov_b32_e32 v51, v52
	v_mad_u64_u32 v[52:53], s[4:5], s18, v55, 0
	v_mov_b32_e32 v54, v53
	v_mad_u64_u32 v[54:55], s[4:5], s19, v55, v[54:55]
	v_or_b32_e32 v57, 0x140, v210
	v_mov_b32_e32 v53, v54
	v_mad_u64_u32 v[54:55], s[4:5], s18, v57, 0
	v_mov_b32_e32 v56, v55
	v_mad_u64_u32 v[56:57], s[4:5], s19, v57, v[56:57]
	v_or_b32_e32 v59, 0x170, v210
	v_mov_b32_e32 v55, v56
	v_mad_u64_u32 v[56:57], s[4:5], s18, v59, 0
	v_mov_b32_e32 v58, v57
	v_mad_u64_u32 v[58:59], s[4:5], s19, v59, v[58:59]
	v_or_b32_e32 v61, 0x1a0, v210
	v_mov_b32_e32 v57, v58
	v_mad_u64_u32 v[58:59], s[4:5], s18, v61, 0
	v_mov_b32_e32 v60, v59
	v_mad_u64_u32 v[60:61], s[4:5], s19, v61, v[60:61]
	v_or_b32_e32 v63, 0x1d0, v210
	v_mov_b32_e32 v59, v60
	v_mad_u64_u32 v[60:61], s[4:5], s18, v63, 0
	v_mov_b32_e32 v62, v61
	v_mad_u64_u32 v[62:63], s[4:5], s19, v63, v[62:63]
	v_mov_b32_e32 v61, v62
	v_lshl_add_u64 v[2:3], v[2:3], 4, v[0:1]
	v_lshl_add_u64 v[14:15], v[14:15], 4, v[0:1]
	;; [unrolled: 1-line block ×30, first 2 shown]
	global_load_dwordx4 v[102:105], v[2:3], off
	global_load_dwordx4 v[96:99], v[4:5], off
	;; [unrolled: 1-line block ×14, first 2 shown]
                                        ; kill: killed $vgpr6_vgpr7
                                        ; kill: killed $vgpr2_vgpr3
                                        ; kill: killed $vgpr12_vgpr13
                                        ; kill: killed $vgpr22_vgpr23
                                        ; kill: killed $vgpr18_vgpr19
                                        ; kill: killed $vgpr4_vgpr5
                                        ; kill: killed $vgpr28_vgpr29
                                        ; kill: killed $vgpr10_vgpr11
                                        ; kill: killed $vgpr16_vgpr17
                                        ; kill: killed $vgpr26_vgpr27
                                        ; kill: killed $vgpr8_vgpr9
                                        ; kill: killed $vgpr14_vgpr15
                                        ; kill: killed $vgpr24_vgpr25
                                        ; kill: killed $vgpr20_vgpr21
	global_load_dwordx4 v[80:83], v[30:31], off
	global_load_dwordx4 v[84:87], v[32:33], off
	;; [unrolled: 1-line block ×7, first 2 shown]
                                        ; kill: killed $vgpr30_vgpr31
                                        ; kill: killed $vgpr36_vgpr37
                                        ; kill: killed $vgpr34_vgpr35
                                        ; kill: killed $vgpr40_vgpr41
                                        ; kill: killed $vgpr32_vgpr33
                                        ; kill: killed $vgpr42_vgpr43
                                        ; kill: killed $vgpr38_vgpr39
	global_load_dwordx4 v[18:21], v[100:101], off
	global_load_dwordx4 v[30:33], v[46:47], off
	;; [unrolled: 1-line block ×3, first 2 shown]
	s_nop 0
	global_load_dwordx4 v[42:45], v[138:139], off
                                        ; kill: killed $vgpr46_vgpr47
                                        ; kill: killed $vgpr100_vgpr101
                                        ; kill: killed $vgpr138_vgpr139
                                        ; kill: killed $vgpr48_vgpr49
	global_load_dwordx4 v[22:25], v[140:141], off
	global_load_dwordx4 v[46:49], v[142:143], off
                                        ; kill: killed $vgpr142_vgpr143
                                        ; kill: killed $vgpr140_vgpr141
	global_load_dwordx4 v[34:37], v[144:145], off
	s_nop 0
	global_load_dwordx4 v[58:61], v[58:59], off
	s_nop 0
	global_load_dwordx4 v[38:41], v[0:1], off
.LBB0_13:
	s_or_b64 exec, exec, s[0:1]
	s_waitcnt vmcnt(27)
	v_add_f64 v[0:1], v[130:131], v[102:103]
	s_waitcnt vmcnt(25)
	v_add_f64 v[0:1], v[114:115], v[0:1]
	;; [unrolled: 2-line block ×4, first 2 shown]
	v_add_f64 v[0:1], v[114:115], v[118:119]
	s_mov_b32 s20, 0x134454ff
	v_fma_f64 v[6:7], -0.5, v[0:1], v[102:103]
	v_add_f64 v[0:1], v[132:133], -v[136:137]
	s_mov_b32 s21, 0xbfee6f0e
	s_mov_b32 s18, 0x4755a5e
	;; [unrolled: 1-line block ×4, first 2 shown]
	v_fma_f64 v[8:9], s[20:21], v[0:1], v[6:7]
	v_add_f64 v[2:3], v[116:117], -v[120:121]
	s_mov_b32 s19, 0xbfe2cf23
	v_add_f64 v[10:11], v[130:131], -v[114:115]
	v_add_f64 v[12:13], v[134:135], -v[118:119]
	s_mov_b32 s10, 0x372fe950
	v_fmac_f64_e32 v[6:7], s[12:13], v[0:1]
	s_mov_b32 s15, 0x3fe2cf23
	s_mov_b32 s14, s18
	v_fmac_f64_e32 v[8:9], s[18:19], v[2:3]
	v_add_f64 v[10:11], v[12:13], v[10:11]
	s_mov_b32 s11, 0x3fd3c6ef
	v_fmac_f64_e32 v[6:7], s[14:15], v[2:3]
	v_fmac_f64_e32 v[8:9], s[10:11], v[10:11]
	;; [unrolled: 1-line block ×3, first 2 shown]
	v_add_f64 v[10:11], v[134:135], v[130:131]
	v_fmac_f64_e32 v[102:103], -0.5, v[10:11]
	v_fma_f64 v[10:11], s[12:13], v[2:3], v[102:103]
	v_fmac_f64_e32 v[102:103], s[20:21], v[2:3]
	v_fmac_f64_e32 v[10:11], s[18:19], v[0:1]
	v_fmac_f64_e32 v[102:103], s[14:15], v[0:1]
	v_add_f64 v[0:1], v[96:97], v[106:107]
	v_mul_u32_u24_e32 v138, 0x1e0, v74
	v_add_f64 v[12:13], v[114:115], -v[130:131]
	v_add_f64 v[74:75], v[118:119], -v[134:135]
	v_add_f64 v[0:1], v[0:1], v[122:123]
	v_add_f64 v[12:13], v[74:75], v[12:13]
	;; [unrolled: 1-line block ×3, first 2 shown]
	v_fmac_f64_e32 v[10:11], s[10:11], v[12:13]
	v_fmac_f64_e32 v[102:103], s[10:11], v[12:13]
	s_waitcnt vmcnt(20)
	v_add_f64 v[12:13], v[110:111], v[0:1]
	v_add_f64 v[0:1], v[126:127], v[122:123]
	v_fma_f64 v[170:171], -0.5, v[0:1], v[96:97]
	v_add_f64 v[0:1], v[108:109], -v[112:113]
	v_fma_f64 v[172:173], s[20:21], v[0:1], v[170:171]
	v_add_f64 v[2:3], v[124:125], -v[128:129]
	v_add_f64 v[74:75], v[106:107], -v[122:123]
	;; [unrolled: 1-line block ×3, first 2 shown]
	v_fmac_f64_e32 v[170:171], s[12:13], v[0:1]
	v_fmac_f64_e32 v[172:173], s[18:19], v[2:3]
	v_add_f64 v[74:75], v[100:101], v[74:75]
	v_fmac_f64_e32 v[170:171], s[14:15], v[2:3]
	v_fmac_f64_e32 v[172:173], s[10:11], v[74:75]
	;; [unrolled: 1-line block ×3, first 2 shown]
	v_add_f64 v[74:75], v[106:107], v[110:111]
	v_fmac_f64_e32 v[96:97], -0.5, v[74:75]
	v_fma_f64 v[174:175], s[12:13], v[2:3], v[96:97]
	v_fmac_f64_e32 v[96:97], s[20:21], v[2:3]
	v_fmac_f64_e32 v[174:175], s[18:19], v[0:1]
	v_add_f64 v[74:75], v[122:123], -v[106:107]
	v_add_f64 v[100:101], v[126:127], -v[110:111]
	v_fmac_f64_e32 v[96:97], s[14:15], v[0:1]
	v_add_f64 v[0:1], v[128:129], v[124:125]
	v_add_f64 v[74:75], v[100:101], v[74:75]
	v_fma_f64 v[176:177], -0.5, v[0:1], v[98:99]
	v_add_f64 v[0:1], v[106:107], -v[110:111]
	v_fmac_f64_e32 v[174:175], s[10:11], v[74:75]
	v_fmac_f64_e32 v[96:97], s[10:11], v[74:75]
	v_fma_f64 v[106:107], s[12:13], v[0:1], v[176:177]
	v_add_f64 v[2:3], v[122:123], -v[126:127]
	v_add_f64 v[74:75], v[108:109], -v[124:125]
	;; [unrolled: 1-line block ×3, first 2 shown]
	v_fmac_f64_e32 v[176:177], s[20:21], v[0:1]
	v_fmac_f64_e32 v[106:107], s[14:15], v[2:3]
	v_add_f64 v[74:75], v[100:101], v[74:75]
	v_fmac_f64_e32 v[176:177], s[18:19], v[2:3]
	v_fmac_f64_e32 v[106:107], s[10:11], v[74:75]
	;; [unrolled: 1-line block ×3, first 2 shown]
	v_add_f64 v[74:75], v[108:109], v[112:113]
	v_fma_f64 v[110:111], -0.5, v[74:75], v[98:99]
	v_fma_f64 v[122:123], s[20:21], v[2:3], v[110:111]
	v_add_f64 v[74:75], v[124:125], -v[108:109]
	v_add_f64 v[100:101], v[128:129], -v[112:113]
	v_fmac_f64_e32 v[110:111], s[12:13], v[2:3]
	v_fmac_f64_e32 v[122:123], s[14:15], v[0:1]
	v_add_f64 v[74:75], v[100:101], v[74:75]
	v_fmac_f64_e32 v[110:111], s[18:19], v[0:1]
	s_mov_b32 s22, 0x9b97f4a8
	v_lshlrev_b32_e32 v218, 3, v138
	v_fmac_f64_e32 v[122:123], s[10:11], v[74:75]
	v_fmac_f64_e32 v[110:111], s[10:11], v[74:75]
	v_mul_f64 v[74:75], v[106:107], s[18:19]
	s_mov_b32 s23, 0x3fe9e377
	v_mul_u32_u24_e32 v100, 10, v210
	v_add_u32_e32 v152, 0, v218
	v_fmac_f64_e32 v[74:75], s[22:23], v[172:173]
	v_lshl_add_u32 v204, v100, 3, v152
	v_mul_f64 v[100:101], v[122:123], s[20:21]
	v_add_f64 v[0:1], v[12:13], v[4:5]
	v_add_f64 v[2:3], v[8:9], v[74:75]
	v_fmac_f64_e32 v[100:101], s[10:11], v[174:175]
	ds_write_b128 v204, v[0:3]
	v_add_f64 v[0:1], v[8:9], -v[74:75]
	v_add_f64 v[2:3], v[10:11], -v[100:101]
	v_add_f64 v[8:9], v[100:101], v[10:11]
	s_mov_b32 s1, 0xbfe9e377
	s_mov_b32 s0, s22
	v_mul_f64 v[100:101], v[176:177], s[18:19]
	v_fmac_f64_e32 v[100:101], s[0:1], v[170:171]
	ds_write_b128 v204, v[0:3] offset:48
	s_waitcnt vmcnt(14)
	v_add_f64 v[0:1], v[66:67], -v[84:85]
	s_waitcnt vmcnt(10)
	v_add_f64 v[2:3], v[76:77], -v[70:71]
	v_add_f64 v[140:141], v[4:5], -v[12:13]
	v_add_f64 v[138:139], v[6:7], v[100:101]
	v_add_f64 v[6:7], v[6:7], -v[100:101]
	v_add_f64 v[100:101], v[2:3], v[0:1]
	v_add_f64 v[0:1], v[68:69], -v[86:87]
	v_add_f64 v[2:3], v[78:79], -v[72:73]
	ds_write_b128 v204, v[138:141] offset:32
	v_add_f64 v[138:139], v[2:3], v[0:1]
	v_add_f64 v[0:1], v[54:55], v[66:67]
	;; [unrolled: 1-line block ×4, first 2 shown]
	v_mul_f64 v[74:75], v[110:111], s[20:21]
	s_mov_b32 s5, 0xbfd3c6ef
	s_mov_b32 s4, s10
	v_add_f64 v[142:143], v[76:77], v[0:1]
	v_add_f64 v[0:1], v[70:71], v[84:85]
	v_fmac_f64_e32 v[74:75], s[4:5], v[96:97]
	v_fma_f64 v[126:127], -0.5, v[0:1], v[54:55]
	v_add_f64 v[0:1], v[72:73], v[86:87]
	v_add_f64 v[10:11], v[74:75], v[102:103]
	v_fma_f64 v[178:179], -0.5, v[0:1], v[56:57]
	v_add_f64 v[148:149], v[66:67], -v[76:77]
	v_add_f64 v[4:5], v[102:103], -v[74:75]
	ds_write_b128 v204, v[8:11] offset:16
	v_add_f64 v[10:11], v[80:81], v[88:89]
	v_add_f64 v[12:13], v[62:63], -v[80:81]
	v_add_f64 v[74:75], v[92:93], -v[88:89]
	;; [unrolled: 1-line block ×3, first 2 shown]
	v_fma_f64 v[182:183], s[12:13], v[148:149], v[178:179]
	v_add_f64 v[150:151], v[84:85], -v[70:71]
	v_add_f64 v[8:9], v[62:63], v[50:51]
	v_fma_f64 v[10:11], -0.5, v[10:11], v[50:51]
	v_add_f64 v[12:13], v[12:13], v[74:75]
	v_add_f64 v[74:75], v[64:65], -v[94:95]
	v_fma_f64 v[180:181], s[20:21], v[144:145], v[126:127]
	v_add_f64 v[146:147], v[86:87], -v[72:73]
	v_fmac_f64_e32 v[182:183], s[14:15], v[150:151]
	v_add_f64 v[8:9], v[80:81], v[8:9]
	v_fma_f64 v[102:103], s[20:21], v[74:75], v[10:11]
	v_add_f64 v[140:141], v[82:83], -v[90:91]
	v_fmac_f64_e32 v[180:181], s[18:19], v[146:147]
	v_fmac_f64_e32 v[182:183], s[10:11], v[138:139]
	v_add_f64 v[8:9], v[88:89], v[8:9]
	ds_write_b128 v204, v[4:7] offset:64
	v_fmac_f64_e32 v[102:103], s[18:19], v[140:141]
	v_fmac_f64_e32 v[180:181], s[10:11], v[100:101]
	v_mul_f64 v[4:5], v[182:183], s[18:19]
	v_add_f64 v[8:9], v[92:93], v[8:9]
	v_fmac_f64_e32 v[102:103], s[10:11], v[12:13]
	v_fmac_f64_e32 v[4:5], s[22:23], v[180:181]
	v_mul_i32_i24_e32 v6, 10, v211
	v_add_f64 v[0:1], v[142:143], v[8:9]
	v_add_f64 v[2:3], v[102:103], v[4:5]
	v_lshl_add_u32 v205, v6, 3, v152
	ds_write_b128 v205, v[0:3]
	v_add_f64 v[0:1], v[62:63], v[92:93]
	v_fmac_f64_e32 v[50:51], -0.5, v[0:1]
	v_add_f64 v[0:1], v[80:81], -v[62:63]
	v_add_f64 v[2:3], v[88:89], -v[92:93]
	v_fma_f64 v[6:7], s[12:13], v[140:141], v[50:51]
	v_fmac_f64_e32 v[50:51], s[20:21], v[140:141]
	v_add_f64 v[0:1], v[0:1], v[2:3]
	v_fmac_f64_e32 v[6:7], s[18:19], v[74:75]
	v_fmac_f64_e32 v[50:51], s[14:15], v[74:75]
	;; [unrolled: 1-line block ×4, first 2 shown]
	v_add_f64 v[0:1], v[76:77], v[66:67]
	v_fmac_f64_e32 v[54:55], -0.5, v[0:1]
	v_add_f64 v[0:1], v[84:85], -v[66:67]
	v_add_f64 v[2:3], v[70:71], -v[76:77]
	v_fma_f64 v[66:67], s[12:13], v[146:147], v[54:55]
	v_fmac_f64_e32 v[54:55], s[20:21], v[146:147]
	v_add_f64 v[0:1], v[2:3], v[0:1]
	v_fmac_f64_e32 v[66:67], s[18:19], v[144:145]
	v_fmac_f64_e32 v[54:55], s[14:15], v[144:145]
	;; [unrolled: 1-line block ×4, first 2 shown]
	v_add_f64 v[0:1], v[86:87], -v[68:69]
	v_add_f64 v[2:3], v[72:73], -v[78:79]
	v_add_f64 v[0:1], v[2:3], v[0:1]
	v_add_f64 v[2:3], v[78:79], v[68:69]
	v_fma_f64 v[70:71], -0.5, v[2:3], v[56:57]
	v_fma_f64 v[184:185], s[20:21], v[150:151], v[70:71]
	v_fmac_f64_e32 v[184:185], s[14:15], v[148:149]
	v_fmac_f64_e32 v[184:185], s[10:11], v[0:1]
	v_fmac_f64_e32 v[70:71], s[12:13], v[150:151]
	v_fmac_f64_e32 v[70:71], s[18:19], v[148:149]
	v_mul_f64 v[76:77], v[184:185], s[20:21]
	v_fmac_f64_e32 v[178:179], s[20:21], v[148:149]
	v_fmac_f64_e32 v[70:71], s[10:11], v[0:1]
	;; [unrolled: 1-line block ×6, first 2 shown]
	v_add_f64 v[0:1], v[102:103], -v[4:5]
	v_add_f64 v[2:3], v[6:7], -v[76:77]
	v_add_f64 v[4:5], v[6:7], v[76:77]
	v_mul_f64 v[76:77], v[70:71], s[20:21]
	v_fmac_f64_e32 v[10:11], s[14:15], v[140:141]
	v_fmac_f64_e32 v[126:127], s[14:15], v[146:147]
	;; [unrolled: 1-line block ×6, first 2 shown]
	v_mul_f64 v[12:13], v[178:179], s[18:19]
	v_add_f64 v[6:7], v[50:51], v[76:77]
	v_fmac_f64_e32 v[12:13], s[0:1], v[126:127]
	ds_write_b128 v205, v[4:7] offset:16
	v_add_f64 v[6:7], v[8:9], -v[142:143]
	v_add_f64 v[4:5], v[10:11], v[12:13]
	ds_write_b128 v205, v[4:7] offset:32
	ds_write_b128 v205, v[0:3] offset:48
	v_add_f64 v[2:3], v[10:11], -v[12:13]
	v_add_f64 v[0:1], v[50:51], -v[76:77]
	ds_write_b128 v205, v[0:3] offset:64
	s_waitcnt vmcnt(5)
	v_add_f64 v[0:1], v[30:31], -v[42:43]
	s_waitcnt vmcnt(1)
	v_add_f64 v[2:3], v[58:59], -v[46:47]
	v_add_f64 v[4:5], v[2:3], v[0:1]
	v_add_f64 v[0:1], v[26:27], -v[22:23]
	s_waitcnt vmcnt(0)
	v_add_f64 v[2:3], v[38:39], -v[34:35]
	v_add_f64 v[6:7], v[2:3], v[0:1]
	v_add_f64 v[0:1], v[28:29], -v[24:25]
	v_add_f64 v[2:3], v[40:41], -v[36:37]
	v_add_f64 v[8:9], v[2:3], v[0:1]
	v_add_f64 v[0:1], v[14:15], v[30:31]
	;; [unrolled: 1-line block ×6, first 2 shown]
	v_fma_f64 v[12:13], -0.5, v[0:1], v[14:15]
	v_add_f64 v[0:1], v[26:27], v[18:19]
	v_add_f64 v[0:1], v[22:23], v[0:1]
	;; [unrolled: 1-line block ×5, first 2 shown]
	v_fma_f64 v[50:51], -0.5, v[0:1], v[18:19]
	v_add_f64 v[0:1], v[24:25], v[36:37]
	v_fma_f64 v[84:85], -0.5, v[0:1], v[20:21]
	v_add_f64 v[146:147], v[26:27], -v[38:39]
	v_add_f64 v[142:143], v[28:29], -v[40:41]
	v_fma_f64 v[188:189], s[12:13], v[146:147], v[84:85]
	v_add_f64 v[148:149], v[22:23], -v[34:35]
	v_add_f64 v[74:75], v[32:33], -v[60:61]
	v_fma_f64 v[186:187], s[20:21], v[142:143], v[50:51]
	v_add_f64 v[144:145], v[24:25], -v[36:37]
	v_fmac_f64_e32 v[188:189], s[14:15], v[148:149]
	v_fma_f64 v[76:77], s[20:21], v[74:75], v[12:13]
	v_add_f64 v[138:139], v[44:45], -v[48:49]
	v_fmac_f64_e32 v[186:187], s[18:19], v[144:145]
	v_fmac_f64_e32 v[188:189], s[10:11], v[8:9]
	;; [unrolled: 1-line block ×4, first 2 shown]
	v_mul_f64 v[100:101], v[188:189], s[18:19]
	v_fmac_f64_e32 v[76:77], s[10:11], v[4:5]
	v_fmac_f64_e32 v[100:101], s[22:23], v[186:187]
	v_mul_i32_i24_e32 v102, 10, v213
	v_add_f64 v[0:1], v[10:11], v[140:141]
	v_add_f64 v[2:3], v[76:77], v[100:101]
	v_lshl_add_u32 v206, v102, 3, v152
	ds_write_b128 v206, v[0:3]
	v_add_f64 v[0:1], v[30:31], v[58:59]
	v_fmac_f64_e32 v[14:15], -0.5, v[0:1]
	v_add_f64 v[0:1], v[42:43], -v[30:31]
	v_add_f64 v[2:3], v[46:47], -v[58:59]
	v_add_f64 v[0:1], v[2:3], v[0:1]
	v_fma_f64 v[2:3], s[12:13], v[138:139], v[14:15]
	v_fmac_f64_e32 v[14:15], s[20:21], v[138:139]
	v_fmac_f64_e32 v[2:3], s[18:19], v[74:75]
	v_fmac_f64_e32 v[14:15], s[14:15], v[74:75]
	v_fmac_f64_e32 v[2:3], s[10:11], v[0:1]
	v_fmac_f64_e32 v[14:15], s[10:11], v[0:1]
	v_add_f64 v[0:1], v[38:39], v[26:27]
	v_fmac_f64_e32 v[18:19], -0.5, v[0:1]
	v_add_f64 v[0:1], v[22:23], -v[26:27]
	v_add_f64 v[22:23], v[34:35], -v[38:39]
	v_add_f64 v[0:1], v[22:23], v[0:1]
	v_fma_f64 v[22:23], s[12:13], v[144:145], v[18:19]
	v_fmac_f64_e32 v[18:19], s[20:21], v[144:145]
	v_fmac_f64_e32 v[22:23], s[18:19], v[142:143]
	;; [unrolled: 1-line block ×5, first 2 shown]
	v_add_f64 v[0:1], v[24:25], -v[28:29]
	v_add_f64 v[26:27], v[36:37], -v[40:41]
	v_add_f64 v[0:1], v[26:27], v[0:1]
	v_add_f64 v[26:27], v[40:41], v[28:29]
	v_fma_f64 v[26:27], -0.5, v[26:27], v[20:21]
	v_fma_f64 v[34:35], s[20:21], v[148:149], v[26:27]
	v_fmac_f64_e32 v[26:27], s[12:13], v[148:149]
	v_fmac_f64_e32 v[34:35], s[14:15], v[146:147]
	;; [unrolled: 1-line block ×5, first 2 shown]
	v_mul_f64 v[0:1], v[34:35], s[20:21]
	v_mul_f64 v[38:39], v[26:27], s[20:21]
	v_fmac_f64_e32 v[84:85], s[20:21], v[146:147]
	v_fmac_f64_e32 v[0:1], s[10:11], v[22:23]
	;; [unrolled: 1-line block ×5, first 2 shown]
	v_add_f64 v[102:103], v[2:3], -v[0:1]
	v_add_f64 v[0:1], v[2:3], v[0:1]
	v_add_f64 v[2:3], v[14:15], v[38:39]
	v_fmac_f64_e32 v[12:13], s[12:13], v[74:75]
	v_fmac_f64_e32 v[50:51], s[14:15], v[144:145]
	;; [unrolled: 1-line block ×3, first 2 shown]
	ds_write_b128 v206, v[0:3] offset:16
	v_fmac_f64_e32 v[12:13], s[14:15], v[138:139]
	v_fmac_f64_e32 v[50:51], s[10:11], v[6:7]
	v_mul_f64 v[0:1], v[84:85], s[18:19]
	v_fmac_f64_e32 v[12:13], s[10:11], v[4:5]
	v_fmac_f64_e32 v[0:1], s[0:1], v[50:51]
	v_lshlrev_b32_e32 v8, 3, v210
	v_add_f64 v[6:7], v[10:11], -v[140:141]
	v_add_f64 v[4:5], v[12:13], v[0:1]
	v_add_u32_e32 v214, v152, v8
	v_add3_u32 v215, 0, v8, v218
	v_add_f64 v[100:101], v[76:77], -v[100:101]
	v_add_f64 v[2:3], v[12:13], -v[0:1]
	;; [unrolled: 1-line block ×3, first 2 shown]
	s_load_dwordx2 s[4:5], s[2:3], 0x0
	ds_write_b128 v206, v[4:7] offset:32
	ds_write_b128 v206, v[100:103] offset:48
	;; [unrolled: 1-line block ×3, first 2 shown]
	s_waitcnt lgkmcnt(0)
	; wave barrier
	s_waitcnt lgkmcnt(0)
	v_lshl_add_u32 v216, v211, 3, v152
	v_lshl_add_u32 v217, v213, 3, v152
	v_add_u32_e32 v38, 0x800, v215
	ds_read_b64 v[198:199], v214
	ds_read_b64 v[194:195], v217
	;; [unrolled: 1-line block ×3, first 2 shown]
	ds_read_b64 v[202:203], v215 offset:3616
	ds_read2_b64 v[166:169], v215 offset0:60 offset1:76
	ds_read2_b64 v[146:149], v215 offset0:92 offset1:120
	;; [unrolled: 1-line block ×8, first 2 shown]
	ds_read2_b64 v[12:15], v38 offset1:16
	ds_read2_b64 v[142:145], v38 offset0:120 offset1:136
	v_cmp_gt_u32_e64 s[0:1], 12, v210
	v_lshlrev_b32_e32 v219, 3, v212
                                        ; implicit-def: $vgpr200_vgpr201
                                        ; implicit-def: $vgpr76_vgpr77
	s_and_saveexec_b64 s[2:3], s[0:1]
	s_cbranch_execz .LBB0_15
; %bb.14:
	ds_read2_b64 v[220:223], v215 offset0:108 offset1:168
	v_add3_u32 v4, 0, v219, v218
	v_add_u32_e32 v0, 0x400, v215
	ds_read2_b64 v[0:3], v0 offset0:100 offset1:160
	ds_read2_b64 v[74:77], v38 offset0:92 offset1:152
	ds_read_b64 v[4:5], v4
	ds_read_b64 v[200:201], v215 offset:3744
	s_waitcnt lgkmcnt(3)
	v_mov_b64_e32 v[102:103], v[0:1]
	v_mov_b64_e32 v[6:7], v[220:221]
	;; [unrolled: 1-line block ×3, first 2 shown]
	s_waitcnt lgkmcnt(2)
	v_mov_b64_e32 v[2:3], v[74:75]
	v_mov_b64_e32 v[100:101], v[222:223]
.LBB0_15:
	s_or_b64 exec, exec, s[2:3]
	v_add_f64 v[208:209], v[116:117], v[120:121]
	v_fma_f64 v[208:209], -0.5, v[208:209], v[104:105]
	v_add_f64 v[130:131], v[130:131], -v[134:135]
	v_fma_f64 v[134:135], s[12:13], v[130:131], v[208:209]
	v_add_f64 v[114:115], v[114:115], -v[118:119]
	v_add_f64 v[118:119], v[132:133], -v[116:117]
	;; [unrolled: 1-line block ×3, first 2 shown]
	v_fmac_f64_e32 v[208:209], s[20:21], v[130:131]
	v_fmac_f64_e32 v[134:135], s[14:15], v[114:115]
	v_add_f64 v[118:119], v[220:221], v[118:119]
	v_fmac_f64_e32 v[208:209], s[18:19], v[114:115]
	v_add_f64 v[74:75], v[132:133], v[104:105]
	v_fmac_f64_e32 v[134:135], s[10:11], v[118:119]
	v_fmac_f64_e32 v[208:209], s[10:11], v[118:119]
	v_add_f64 v[118:119], v[136:137], v[132:133]
	v_add_f64 v[74:75], v[116:117], v[74:75]
	v_fmac_f64_e32 v[104:105], -0.5, v[118:119]
	v_add_f64 v[74:75], v[120:121], v[74:75]
	v_fma_f64 v[118:119], s[20:21], v[114:115], v[104:105]
	v_add_f64 v[116:117], v[116:117], -v[132:133]
	v_add_f64 v[120:121], v[120:121], -v[136:137]
	v_fmac_f64_e32 v[104:105], s[12:13], v[114:115]
	v_fmac_f64_e32 v[118:119], s[14:15], v[130:131]
	v_add_f64 v[116:117], v[120:121], v[116:117]
	v_fmac_f64_e32 v[104:105], s[18:19], v[130:131]
	v_add_f64 v[98:99], v[98:99], v[108:109]
	v_mul_f64 v[120:121], v[122:123], s[10:11]
	v_mul_f64 v[108:109], v[110:111], s[10:11]
	v_fmac_f64_e32 v[118:119], s[10:11], v[116:117]
	v_fmac_f64_e32 v[104:105], s[10:11], v[116:117]
	v_mul_f64 v[116:117], v[172:173], s[14:15]
	v_fmac_f64_e32 v[120:121], s[12:13], v[174:175]
	v_fma_f64 v[110:111], v[96:97], s[12:13], -v[108:109]
	v_add_f64 v[98:99], v[98:99], v[124:125]
	v_fmac_f64_e32 v[116:117], s[22:23], v[106:107]
	v_add_f64 v[106:107], v[118:119], v[120:121]
	v_add_f64 v[108:109], v[104:105], v[110:111]
	v_add_f64 v[118:119], v[118:119], -v[120:121]
	v_add_f64 v[120:121], v[104:105], -v[110:111]
	v_add_f64 v[104:105], v[82:83], v[90:91]
	v_add_f64 v[98:99], v[128:129], v[98:99]
	v_fma_f64 v[104:105], -0.5, v[104:105], v[52:53]
	v_add_f64 v[62:63], v[62:63], -v[92:93]
	v_add_f64 v[74:75], v[136:137], v[74:75]
	v_add_f64 v[98:99], v[112:113], v[98:99]
	v_fma_f64 v[92:93], s[12:13], v[62:63], v[104:105]
	v_add_f64 v[80:81], v[80:81], -v[88:89]
	v_add_f64 v[88:89], v[64:65], -v[82:83]
	v_add_f64 v[110:111], v[94:95], -v[90:91]
	v_fmac_f64_e32 v[104:105], s[20:21], v[62:63]
	v_add_f64 v[112:113], v[98:99], v[74:75]
	v_add_f64 v[98:99], v[74:75], -v[98:99]
	v_add_f64 v[74:75], v[64:65], v[52:53]
	v_fmac_f64_e32 v[92:93], s[14:15], v[80:81]
	v_add_f64 v[88:89], v[88:89], v[110:111]
	v_fmac_f64_e32 v[104:105], s[18:19], v[80:81]
	v_add_f64 v[56:57], v[56:57], v[68:69]
	v_add_f64 v[74:75], v[82:83], v[74:75]
	v_fmac_f64_e32 v[92:93], s[10:11], v[88:89]
	v_fmac_f64_e32 v[104:105], s[10:11], v[88:89]
	v_add_f64 v[88:89], v[64:65], v[94:95]
	v_add_f64 v[56:57], v[86:87], v[56:57]
	;; [unrolled: 1-line block ×3, first 2 shown]
	v_fmac_f64_e32 v[52:53], -0.5, v[88:89]
	v_add_f64 v[56:57], v[72:73], v[56:57]
	v_add_f64 v[74:75], v[94:95], v[74:75]
	v_fma_f64 v[88:89], s[20:21], v[80:81], v[52:53]
	v_add_f64 v[64:65], v[82:83], -v[64:65]
	v_add_f64 v[82:83], v[90:91], -v[94:95]
	v_fmac_f64_e32 v[52:53], s[12:13], v[80:81]
	v_add_f64 v[56:57], v[78:79], v[56:57]
	v_mul_f64 v[68:69], v[70:71], s[10:11]
	v_fmac_f64_e32 v[88:89], s[14:15], v[62:63]
	v_add_f64 v[64:65], v[64:65], v[82:83]
	v_fmac_f64_e32 v[52:53], s[18:19], v[62:63]
	v_add_f64 v[62:63], v[56:57], v[74:75]
	v_mul_f64 v[72:73], v[182:183], s[22:23]
	v_mul_f64 v[78:79], v[66:67], s[12:13]
	v_fma_f64 v[80:81], v[54:55], s[12:13], -v[68:69]
	v_mul_f64 v[54:55], v[178:179], s[22:23]
	v_add_f64 v[56:57], v[74:75], -v[56:57]
	v_add_f64 v[74:75], v[48:49], v[44:45]
	v_fmac_f64_e32 v[88:89], s[10:11], v[64:65]
	v_fmac_f64_e32 v[52:53], s[10:11], v[64:65]
	;; [unrolled: 1-line block ×4, first 2 shown]
	v_fma_f64 v[82:83], v[126:127], s[14:15], -v[54:55]
	v_fma_f64 v[74:75], -0.5, v[74:75], v[16:17]
	v_add_f64 v[30:31], v[30:31], -v[58:59]
	v_add_f64 v[64:65], v[92:93], v[72:73]
	v_add_f64 v[66:67], v[88:89], v[78:79]
	;; [unrolled: 1-line block ×4, first 2 shown]
	v_add_f64 v[70:71], v[92:93], -v[72:73]
	v_add_f64 v[72:73], v[88:89], -v[78:79]
	;; [unrolled: 1-line block ×4, first 2 shown]
	v_fma_f64 v[58:59], s[12:13], v[30:31], v[74:75]
	v_add_f64 v[42:43], v[42:43], -v[46:47]
	v_add_f64 v[46:47], v[32:33], -v[44:45]
	;; [unrolled: 1-line block ×3, first 2 shown]
	v_fmac_f64_e32 v[74:75], s[20:21], v[30:31]
	v_fmac_f64_e32 v[58:59], s[14:15], v[42:43]
	v_add_f64 v[46:47], v[82:83], v[46:47]
	v_fmac_f64_e32 v[74:75], s[18:19], v[42:43]
	v_fmac_f64_e32 v[58:59], s[10:11], v[46:47]
	;; [unrolled: 1-line block ×3, first 2 shown]
	v_add_f64 v[46:47], v[32:33], v[60:61]
	v_add_f64 v[52:53], v[16:17], v[32:33]
	v_fmac_f64_e32 v[16:17], -0.5, v[46:47]
	v_add_f64 v[20:21], v[28:29], v[20:21]
	v_add_f64 v[52:53], v[52:53], v[44:45]
	v_fma_f64 v[46:47], s[20:21], v[42:43], v[16:17]
	v_add_f64 v[32:33], v[44:45], -v[32:33]
	v_add_f64 v[44:45], v[48:49], -v[60:61]
	v_add_f64 v[20:21], v[24:25], v[20:21]
	v_add_f64 v[52:53], v[48:49], v[52:53]
	v_fmac_f64_e32 v[46:47], s[14:15], v[30:31]
	v_add_f64 v[32:33], v[44:45], v[32:33]
	v_fmac_f64_e32 v[16:17], s[12:13], v[42:43]
	v_add_f64 v[20:21], v[36:37], v[20:21]
	v_mul_f64 v[24:25], v[186:187], s[14:15]
	v_mul_f64 v[22:23], v[22:23], s[12:13]
	;; [unrolled: 1-line block ×4, first 2 shown]
	v_add_f64 v[52:53], v[60:61], v[52:53]
	v_fmac_f64_e32 v[46:47], s[10:11], v[32:33]
	v_fmac_f64_e32 v[16:17], s[18:19], v[30:31]
	v_add_f64 v[20:21], v[40:41], v[20:21]
	v_fmac_f64_e32 v[24:25], s[22:23], v[188:189]
	v_fmac_f64_e32 v[22:23], s[10:11], v[34:35]
	v_fma_f64 v[26:27], v[18:19], s[12:13], -v[26:27]
	v_mul_f64 v[18:19], v[84:85], s[22:23]
	v_add_f64 v[114:115], v[134:135], v[116:117]
	v_fma_f64 v[122:123], v[170:171], s[14:15], -v[96:97]
	v_fmac_f64_e32 v[16:17], s[10:11], v[32:33]
	v_add_f64 v[28:29], v[52:53], v[20:21]
	v_add_f64 v[30:31], v[58:59], v[24:25]
	;; [unrolled: 1-line block ×3, first 2 shown]
	v_fma_f64 v[36:37], v[50:51], s[14:15], -v[18:19]
	v_add_f64 v[96:97], v[208:209], v[122:123]
	v_add_f64 v[116:117], v[134:135], -v[116:117]
	v_add_f64 v[122:123], v[208:209], -v[122:123]
	v_add_f64 v[34:35], v[16:17], v[26:27]
	v_add_f64 v[18:19], v[74:75], v[36:37]
	v_add_f64 v[20:21], v[52:53], -v[20:21]
	v_add_f64 v[44:45], v[58:59], -v[24:25]
	;; [unrolled: 1-line block ×5, first 2 shown]
	s_waitcnt lgkmcnt(0)
	; wave barrier
	s_waitcnt lgkmcnt(0)
	ds_write_b128 v204, v[112:115]
	ds_write_b128 v204, v[106:109] offset:16
	ds_write_b128 v204, v[96:99] offset:32
	ds_write_b128 v204, v[116:119] offset:48
	ds_write_b128 v204, v[120:123] offset:64
	ds_write_b128 v205, v[62:65]
	ds_write_b128 v205, v[66:69] offset:16
	ds_write_b128 v205, v[54:57] offset:32
	ds_write_b128 v205, v[70:73] offset:48
	ds_write_b128 v205, v[78:81] offset:64
	;; [unrolled: 5-line block ×3, first 2 shown]
	s_waitcnt lgkmcnt(0)
	; wave barrier
	s_waitcnt lgkmcnt(0)
	ds_read_b64 v[136:137], v214
	ds_read2_b64 v[82:85], v215 offset0:60 offset1:76
	ds_read2_b64 v[56:59], v215 offset0:92 offset1:120
	;; [unrolled: 1-line block ×8, first 2 shown]
	ds_read2_b64 v[30:33], v38 offset1:16
	ds_read2_b64 v[52:55], v38 offset0:120 offset1:136
	ds_read_b64 v[16:17], v217
	ds_read_b64 v[98:99], v216
	ds_read_b64 v[206:207], v215 offset:3616
                                        ; implicit-def: $vgpr38_vgpr39
                                        ; implicit-def: $vgpr204_vgpr205
	s_and_saveexec_b64 s[2:3], s[0:1]
	s_cbranch_execz .LBB0_17
; %bb.16:
	v_add_u32_e32 v19, 0x400, v215
	ds_read2_b64 v[40:43], v215 offset0:108 offset1:168
	ds_read2_b64 v[22:25], v19 offset0:100 offset1:160
	v_add3_u32 v18, 0, v219, v218
	v_add_u32_e32 v19, 0x800, v215
	ds_read2_b64 v[36:39], v19 offset0:92 offset1:152
	ds_read_b64 v[18:19], v18
	ds_read_b64 v[204:205], v215 offset:3744
	s_waitcnt lgkmcnt(4)
	v_mov_b64_e32 v[20:21], v[40:41]
	s_waitcnt lgkmcnt(3)
	v_mov_b64_e32 v[46:47], v[22:23]
	v_mov_b64_e32 v[22:23], v[24:25]
	s_waitcnt lgkmcnt(2)
	v_mov_b64_e32 v[24:25], v[36:37]
	v_mov_b64_e32 v[44:45], v[42:43]
.LBB0_17:
	s_or_b64 exec, exec, s[2:3]
	v_add_u32_e32 v34, -10, v210
	v_cmp_gt_u32_e64 s[2:3], 10, v210
	v_mov_b32_e32 v35, 0
	v_mov_b32_e32 v186, 7
	v_cndmask_b32_e64 v220, v34, v210, s[2:3]
	v_mul_i32_i24_e32 v34, 7, v220
	v_lshl_add_u64 v[40:41], v[34:35], 4, s[8:9]
	global_load_dwordx4 v[90:93], v[40:41], off
	s_movk_i32 s2, 0xcd
	v_mul_lo_u16_sdwa v34, v211, s2 dst_sel:DWORD dst_unused:UNUSED_PAD src0_sel:BYTE_0 src1_sel:DWORD
	v_lshrrev_b16_e32 v221, 11, v34
	v_mul_lo_u16_e32 v34, 10, v221
	v_sub_u16_e32 v222, v211, v34
	v_mul_lo_u16_e32 v34, 7, v222
	v_mov_b32_e32 v35, 4
	v_lshlrev_b32_sdwa v78, v35, v34 dst_sel:DWORD dst_unused:UNUSED_PAD src0_sel:DWORD src1_sel:BYTE_0
	global_load_dwordx4 v[86:89], v78, s[8:9]
	global_load_dwordx4 v[124:127], v[40:41], off offset:16
	global_load_dwordx4 v[120:123], v[40:41], off offset:32
	;; [unrolled: 1-line block ×6, first 2 shown]
	global_load_dwordx4 v[104:107], v78, s[8:9] offset:16
	global_load_dwordx4 v[94:97], v78, s[8:9] offset:32
	s_nop 0
	global_load_dwordx4 v[40:43], v78, s[8:9] offset:48
	global_load_dwordx4 v[128:131], v78, s[8:9] offset:64
	v_mul_lo_u16_sdwa v79, v213, s2 dst_sel:DWORD dst_unused:UNUSED_PAD src0_sel:BYTE_0 src1_sel:DWORD
	global_load_dwordx4 v[170:173], v78, s[8:9] offset:80
	global_load_dwordx4 v[132:135], v78, s[8:9] offset:96
	v_lshrrev_b16_e32 v225, 11, v79
	v_mul_lo_u16_e32 v79, 10, v225
	v_sub_u16_e32 v226, v213, v79
	v_mul_u32_u24_sdwa v78, v226, v186 dst_sel:DWORD dst_unused:UNUSED_PAD src0_sel:BYTE_0 src1_sel:DWORD
	v_lshlrev_b32_e32 v187, 4, v78
	global_load_dwordx4 v[182:185], v187, s[8:9]
	global_load_dwordx4 v[178:181], v187, s[8:9] offset:16
	global_load_dwordx4 v[174:177], v187, s[8:9] offset:32
	;; [unrolled: 1-line block ×3, first 2 shown]
	v_mul_lo_u16_sdwa v188, v212, s2 dst_sel:DWORD dst_unused:UNUSED_PAD src0_sel:BYTE_0 src1_sel:DWORD
	v_lshrrev_b16_e32 v223, 11, v188
	global_load_dwordx4 v[228:231], v187, s[8:9] offset:64
	global_load_dwordx4 v[232:235], v187, s[8:9] offset:80
	v_mul_lo_u16_e32 v188, 10, v223
	v_sub_u16_e32 v224, v212, v188
	v_mul_u32_u24_sdwa v186, v224, v186 dst_sel:DWORD dst_unused:UNUSED_PAD src0_sel:BYTE_0 src1_sel:DWORD
	v_lshlrev_b32_e32 v227, 4, v186
	global_load_dwordx4 v[236:239], v187, s[8:9] offset:96
	global_load_dwordx4 v[240:243], v227, s[8:9] offset:32
	;; [unrolled: 1-line block ×3, first 2 shown]
	global_load_dwordx4 v[248:251], v227, s[8:9]
	s_nop 0
	global_load_dwordx4 v[186:189], v227, s[8:9] offset:96
	global_load_dwordx4 v[252:255], v227, s[8:9] offset:80
	s_mov_b32 s2, 0x667f3bcd
	s_mov_b32 s3, 0x3fe6a09e
	;; [unrolled: 1-line block ×4, first 2 shown]
	s_waitcnt vmcnt(25) lgkmcnt(12)
	v_mul_f64 v[208:209], v[82:83], v[92:93]
	v_mul_f64 v[92:93], v[166:167], v[92:93]
	v_fmac_f64_e32 v[208:209], v[166:167], v[90:91]
	v_fma_f64 v[92:93], v[82:83], v[90:91], -v[92:93]
	s_waitcnt vmcnt(24)
	v_mul_f64 v[90:91], v[84:85], v[88:89]
	v_mul_f64 v[82:83], v[168:169], v[88:89]
	v_fmac_f64_e32 v[90:91], v[168:169], v[86:87]
	v_fma_f64 v[84:85], v[84:85], v[86:87], -v[82:83]
	global_load_dwordx4 v[86:89], v227, s[8:9] offset:64
	s_waitcnt vmcnt(24)
	v_mul_f64 v[82:83], v[148:149], v[126:127]
	s_waitcnt lgkmcnt(11)
	v_mul_f64 v[166:167], v[58:59], v[126:127]
	s_waitcnt vmcnt(23) lgkmcnt(10)
	v_mul_f64 v[126:127], v[72:73], v[122:123]
	v_fma_f64 v[82:83], v[58:59], v[124:125], -v[82:83]
	v_mul_f64 v[58:59], v[162:163], v[122:123]
	v_fmac_f64_e32 v[126:127], v[162:163], v[120:121]
	v_fma_f64 v[72:73], v[72:73], v[120:121], -v[58:59]
	s_waitcnt vmcnt(21) lgkmcnt(8)
	v_mul_f64 v[120:121], v[68:69], v[118:119]
	v_mul_f64 v[58:59], v[158:159], v[118:119]
	v_fmac_f64_e32 v[120:121], v[158:159], v[116:117]
	v_fma_f64 v[68:69], v[68:69], v[116:117], -v[58:59]
	s_waitcnt vmcnt(20) lgkmcnt(7)
	v_mul_f64 v[116:117], v[50:51], v[114:115]
	;; [unrolled: 5-line block ×4, first 2 shown]
	v_mul_f64 v[50:51], v[150:151], v[106:107]
	s_waitcnt vmcnt(17)
	v_mul_f64 v[58:59], v[164:165], v[96:97]
	v_fmac_f64_e32 v[108:109], v[150:151], v[104:105]
	v_fma_f64 v[50:51], v[60:61], v[104:105], -v[50:51]
	v_mul_f64 v[104:105], v[74:75], v[96:97]
	v_fma_f64 v[74:75], v[74:75], v[94:95], -v[58:59]
	s_waitcnt vmcnt(15)
	v_mul_f64 v[58:59], v[160:161], v[130:131]
	v_fma_f64 v[106:107], v[70:71], v[128:129], -v[58:59]
	s_waitcnt vmcnt(14)
	v_mul_f64 v[58:59], v[142:143], v[172:173]
	v_mul_f64 v[96:97], v[70:71], v[130:131]
	s_waitcnt lgkmcnt(3)
	v_mul_f64 v[110:111], v[52:53], v[172:173]
	v_fma_f64 v[118:119], v[52:53], v[170:171], -v[58:59]
	s_waitcnt vmcnt(13)
	v_mul_f64 v[52:53], v[156:157], v[134:135]
	v_fmac_f64_e32 v[166:167], v[148:149], v[124:125]
	v_fmac_f64_e32 v[96:97], v[160:161], v[128:129]
	v_mul_f64 v[124:125], v[66:67], v[134:135]
	v_fma_f64 v[128:129], v[66:67], v[132:133], -v[52:53]
	s_waitcnt vmcnt(12)
	v_mul_f64 v[52:53], v[146:147], v[184:185]
	v_fmac_f64_e32 v[124:125], v[156:157], v[132:133]
	v_mul_f64 v[130:131], v[56:57], v[184:185]
	v_fma_f64 v[132:133], v[56:57], v[182:183], -v[52:53]
	global_load_dwordx4 v[56:59], v227, s[8:9] offset:48
	s_waitcnt vmcnt(12)
	v_mul_f64 v[52:53], v[152:153], v[180:181]
	v_mul_f64 v[134:135], v[62:63], v[180:181]
	v_fma_f64 v[52:53], v[62:63], v[178:179], -v[52:53]
	s_waitcnt vmcnt(11)
	v_mul_f64 v[62:63], v[26:27], v[176:177]
	v_fmac_f64_e32 v[62:63], v[8:9], v[174:175]
	v_mul_f64 v[8:9], v[8:9], v[176:177]
	v_fmac_f64_e32 v[130:131], v[146:147], v[182:183]
	v_fma_f64 v[140:141], v[26:27], v[174:175], -v[8:9]
	s_waitcnt vmcnt(9)
	v_mul_f64 v[146:147], v[48:49], v[230:231]
	v_mul_f64 v[8:9], v[138:139], v[230:231]
	v_fmac_f64_e32 v[146:147], v[138:139], v[228:229]
	v_fma_f64 v[138:139], v[48:49], v[228:229], -v[8:9]
	s_waitcnt vmcnt(8)
	v_mul_f64 v[148:149], v[54:55], v[234:235]
	;; [unrolled: 5-line block ×3, first 2 shown]
	s_waitcnt vmcnt(4)
	v_mul_f64 v[26:27], v[20:21], v[250:251]
	v_fmac_f64_e32 v[134:135], v[152:153], v[178:179]
	s_waitcnt lgkmcnt(0)
	v_fma_f64 v[152:153], v[206:207], v[236:237], -v[8:9]
	v_fmac_f64_e32 v[26:27], v[6:7], v[248:249]
	v_mul_f64 v[6:7], v[6:7], v[250:251]
	v_mul_f64 v[8:9], v[44:45], v[246:247]
	v_fma_f64 v[20:21], v[20:21], v[248:249], -v[6:7]
	v_fmac_f64_e32 v[8:9], v[100:101], v[244:245]
	v_mul_f64 v[6:7], v[100:101], v[246:247]
	v_mul_f64 v[122:123], v[28:29], v[36:37]
	v_fmac_f64_e32 v[122:123], v[10:11], v[34:35]
	v_mul_f64 v[48:49], v[102:103], v[242:243]
	v_fma_f64 v[6:7], v[44:45], v[244:245], -v[6:7]
	v_mul_f64 v[44:45], v[46:47], v[242:243]
	v_fma_f64 v[46:47], v[46:47], v[240:241], -v[48:49]
	v_add_f64 v[48:49], v[198:199], -v[122:123]
	v_fma_f64 v[54:55], v[198:199], 2.0, -v[48:49]
	v_add_f64 v[68:69], v[92:93], -v[68:69]
	v_add_f64 v[64:65], v[72:73], -v[64:65]
	;; [unrolled: 1-line block ×3, first 2 shown]
	s_waitcnt vmcnt(1)
	v_mul_f64 v[100:101], v[24:25], v[88:89]
	v_fmac_f64_e32 v[100:101], v[2:3], v[86:87]
	v_mul_f64 v[2:3], v[2:3], v[88:89]
	v_fma_f64 v[86:87], v[24:25], v[86:87], -v[2:3]
	v_mul_f64 v[88:89], v[38:39], v[254:255]
	v_mul_f64 v[2:3], v[76:77], v[254:255]
	v_fmac_f64_e32 v[88:89], v[76:77], v[252:253]
	v_fma_f64 v[76:77], v[38:39], v[252:253], -v[2:3]
	v_mul_f64 v[2:3], v[200:201], v[188:189]
	v_fma_f64 v[154:155], v[204:205], v[186:187], -v[2:3]
	v_add_f64 v[2:3], v[166:167], -v[116:117]
	v_fma_f64 v[60:61], v[166:167], 2.0, -v[2:3]
	v_add_f64 v[24:25], v[82:83], -v[112:113]
	v_fma_f64 v[38:39], v[92:93], 2.0, -v[68:69]
	;; [unrolled: 2-line block ×4, first 2 shown]
	v_fma_f64 v[112:113], v[126:127], 2.0, -v[92:93]
	v_fma_f64 v[60:61], v[54:55], 2.0, -v[114:115]
	v_add_f64 v[116:117], v[48:49], v[24:25]
	v_add_f64 v[54:55], v[38:39], -v[72:73]
	v_add_f64 v[72:73], v[66:67], v[64:65]
	v_fmac_f64_e32 v[104:105], v[164:165], v[94:95]
	v_mul_f64 v[94:95], v[30:31], v[42:43]
	v_fma_f64 v[120:121], v[48:49], 2.0, -v[116:117]
	v_add_f64 v[48:49], v[70:71], -v[112:113]
	v_add_f64 v[92:93], v[68:69], -v[92:93]
	v_fma_f64 v[66:67], v[66:67], 2.0, -v[72:73]
	v_fmac_f64_e32 v[94:95], v[12:13], v[40:41]
	v_fmac_f64_e32 v[110:111], v[142:143], v[170:171]
	v_fma_f64 v[70:71], v[70:71], 2.0, -v[48:49]
	v_fma_f64 v[68:69], v[68:69], 2.0, -v[92:93]
	v_fma_f64 v[160:161], s[10:11], v[66:67], v[120:121]
	v_fma_f64 v[168:169], s[2:3], v[72:73], v[116:117]
	v_add_f64 v[156:157], v[60:61], -v[70:71]
	v_mul_f64 v[64:65], v[68:69], s[2:3]
	v_fmac_f64_e32 v[160:161], s[2:3], v[68:69]
	v_mul_f64 v[70:71], v[92:93], s[2:3]
	v_fmac_f64_e32 v[168:169], s[2:3], v[92:93]
	v_add_f64 v[92:93], v[196:197], -v[94:95]
	v_add_f64 v[68:69], v[108:109], -v[110:111]
	;; [unrolled: 1-line block ×4, first 2 shown]
	v_fma_f64 v[158:159], v[60:61], 2.0, -v[156:157]
	v_mul_f64 v[60:61], v[66:67], s[2:3]
	v_mul_f64 v[66:67], v[72:73], s[2:3]
	v_fma_f64 v[94:95], v[196:197], 2.0, -v[92:93]
	v_add_f64 v[72:73], v[50:51], -v[118:119]
	v_fma_f64 v[108:109], v[108:109], 2.0, -v[68:69]
	v_fma_f64 v[110:111], v[90:91], 2.0, -v[96:97]
	;; [unrolled: 1-line block ×3, first 2 shown]
	v_add_f64 v[84:85], v[104:105], -v[124:125]
	v_add_f64 v[112:113], v[74:75], -v[128:129]
	v_add_f64 v[164:165], v[114:115], v[54:55]
	v_fma_f64 v[170:171], v[116:117], 2.0, -v[168:169]
	v_fma_f64 v[104:105], v[104:105], 2.0, -v[84:85]
	;; [unrolled: 1-line block ×3, first 2 shown]
	v_add_f64 v[108:109], v[94:95], -v[108:109]
	v_add_f64 v[116:117], v[92:93], v[72:73]
	v_mul_f64 v[142:143], v[32:33], v[80:81]
	v_mul_f64 v[150:151], v[206:207], v[238:239]
	v_fma_f64 v[166:167], v[114:115], 2.0, -v[164:165]
	v_fma_f64 v[114:115], v[94:95], 2.0, -v[108:109]
	;; [unrolled: 1-line block ×3, first 2 shown]
	v_add_f64 v[92:93], v[110:111], -v[104:105]
	v_add_f64 v[94:95], v[90:91], -v[74:75]
	v_add_f64 v[112:113], v[96:97], v[112:113]
	v_fmac_f64_e32 v[142:143], v[14:15], v[78:79]
	v_fmac_f64_e32 v[150:151], v[202:203], v[236:237]
	v_fma_f64 v[74:75], v[110:111], 2.0, -v[92:93]
	v_add_f64 v[84:85], v[106:107], -v[84:85]
	v_fma_f64 v[110:111], v[96:97], 2.0, -v[112:113]
	v_add_f64 v[180:181], v[108:109], v[94:95]
	v_fma_f64 v[184:185], s[2:3], v[112:113], v[116:117]
	v_fmac_f64_e32 v[44:45], v[102:103], v[240:241]
	v_mul_f64 v[102:103], v[204:205], v[188:189]
	v_fma_f64 v[162:163], v[120:121], 2.0, -v[160:161]
	v_fma_f64 v[106:107], v[106:107], 2.0, -v[84:85]
	v_add_f64 v[172:173], v[114:115], -v[74:75]
	v_fma_f64 v[176:177], s[10:11], v[110:111], v[118:119]
	v_fma_f64 v[182:183], v[108:109], 2.0, -v[180:181]
	v_fmac_f64_e32 v[184:185], s[2:3], v[84:85]
	v_add_f64 v[74:75], v[194:195], -v[142:143]
	v_add_f64 v[108:109], v[134:135], -v[148:149]
	;; [unrolled: 1-line block ×4, first 2 shown]
	v_fmac_f64_e32 v[102:103], v[200:201], v[186:187]
	v_mul_f64 v[96:97], v[110:111], s[2:3]
	v_mul_f64 v[104:105], v[106:107], s[2:3]
	v_fmac_f64_e32 v[176:177], s[2:3], v[106:107]
	v_mul_f64 v[106:107], v[112:113], s[2:3]
	v_mul_f64 v[110:111], v[84:85], s[2:3]
	v_fma_f64 v[186:187], v[116:117], 2.0, -v[184:185]
	v_fma_f64 v[84:85], v[194:195], 2.0, -v[74:75]
	v_add_f64 v[112:113], v[52:53], -v[144:145]
	v_fma_f64 v[116:117], v[134:135], 2.0, -v[108:109]
	v_add_f64 v[122:123], v[132:133], -v[138:139]
	;; [unrolled: 2-line block ×3, first 2 shown]
	v_fma_f64 v[62:63], v[62:63], 2.0, -v[126:127]
	v_fma_f64 v[174:175], v[114:115], 2.0, -v[172:173]
	;; [unrolled: 1-line block ×5, first 2 shown]
	v_add_f64 v[130:131], v[84:85], -v[116:117]
	v_add_f64 v[132:133], v[74:75], v[112:113]
	v_add_f64 v[116:117], v[124:125], -v[62:63]
	v_add_f64 v[128:129], v[120:121], v[128:129]
	v_fma_f64 v[84:85], v[84:85], 2.0, -v[130:131]
	v_fma_f64 v[74:75], v[74:75], 2.0, -v[132:133]
	;; [unrolled: 1-line block ×3, first 2 shown]
	v_add_f64 v[134:135], v[122:123], -v[126:127]
	v_fma_f64 v[124:125], v[120:121], 2.0, -v[128:129]
	v_fma_f64 v[126:127], v[122:123], 2.0, -v[134:135]
	v_add_f64 v[138:139], v[84:85], -v[62:63]
	v_fma_f64 v[142:143], s[10:11], v[124:125], v[74:75]
	v_fma_f64 v[140:141], v[84:85], 2.0, -v[138:139]
	v_fmac_f64_e32 v[142:143], s[2:3], v[126:127]
	v_add_f64 v[62:63], v[8:9], -v[88:89]
	v_add_f64 v[84:85], v[26:27], -v[100:101]
	;; [unrolled: 1-line block ×5, first 2 shown]
	v_fma_f64 v[144:145], v[74:75], 2.0, -v[142:143]
	v_fma_f64 v[74:75], v[20:21], 2.0, -v[88:89]
	;; [unrolled: 1-line block ×4, first 2 shown]
	v_add_f64 v[86:87], v[74:75], -v[44:45]
	v_add_f64 v[44:45], v[84:85], v[102:103]
	v_add_f64 v[46:47], v[88:89], -v[100:101]
	v_fma_f64 v[150:151], s[2:3], v[128:129], v[132:133]
	v_fma_f64 v[26:27], v[26:27], 2.0, -v[84:85]
	v_fma_f64 v[84:85], v[84:85], 2.0, -v[44:45]
	;; [unrolled: 1-line block ×3, first 2 shown]
	v_mul_f64 v[120:121], v[124:125], s[2:3]
	v_mul_f64 v[122:123], v[126:127], s[2:3]
	;; [unrolled: 1-line block ×4, first 2 shown]
	v_fmac_f64_e32 v[150:151], s[2:3], v[134:135]
	v_mul_f64 v[100:101], v[84:85], s[2:3]
	v_mul_f64 v[102:103], v[88:89], s[2:3]
	;; [unrolled: 1-line block ×4, first 2 shown]
	v_cmp_lt_u32_e64 s[2:3], 9, v210
	v_mov_b32_e32 v44, 0x50
	v_mov_b32_e32 v45, 3
	v_cndmask_b32_e64 v44, 0, v44, s[2:3]
	v_or_b32_e32 v44, v44, v220
	v_lshlrev_b32_e32 v44, 3, v44
	v_add3_u32 v128, 0, v44, v218
	v_mul_lo_u16_e32 v44, 0x50, v221
	v_or_b32_e32 v44, v44, v222
	v_lshlrev_b32_sdwa v44, v45, v44 dst_sel:DWORD dst_unused:UNUSED_PAD src0_sel:DWORD src1_sel:BYTE_0
	v_add3_u32 v129, 0, v44, v218
	v_mul_u32_u24_e32 v44, 0x50, v225
	v_add_f64 v[118:119], v[114:115], -v[118:119]
	v_or_b32_sdwa v44, v44, v226 dst_sel:DWORD dst_unused:UNUSED_PAD src0_sel:DWORD src1_sel:BYTE_0
	v_add_f64 v[146:147], v[130:131], v[118:119]
	v_lshlrev_b32_e32 v44, 3, v44
	v_fma_f64 v[148:149], v[130:131], 2.0, -v[146:147]
	v_add_f64 v[76:77], v[6:7], -v[76:77]
	v_add_f64 v[20:21], v[26:27], -v[20:21]
	v_add3_u32 v130, 0, v44, v218
	v_fma_f64 v[132:133], v[132:133], 2.0, -v[150:151]
	s_waitcnt lgkmcnt(0)
	; wave barrier
	ds_write2_b64 v128, v[158:159], v[162:163] offset1:10
	ds_write2_b64 v128, v[166:167], v[170:171] offset0:20 offset1:30
	ds_write2_b64 v128, v[156:157], v[160:161] offset0:40 offset1:50
	ds_write2_b64 v128, v[164:165], v[168:169] offset0:60 offset1:70
	ds_write2_b64 v129, v[174:175], v[178:179] offset1:10
	ds_write2_b64 v129, v[182:183], v[186:187] offset0:20 offset1:30
	ds_write2_b64 v129, v[172:173], v[176:177] offset0:40 offset1:50
	ds_write2_b64 v129, v[180:181], v[184:185] offset0:60 offset1:70
	;; [unrolled: 4-line block ×3, first 2 shown]
	s_and_saveexec_b64 s[2:3], s[0:1]
	s_cbranch_execz .LBB0_19
; %bb.18:
	s_waitcnt vmcnt(0)
	v_mul_f64 v[44:45], v[22:23], v[58:59]
	v_fmac_f64_e32 v[44:45], v[0:1], v[56:57]
	v_add_f64 v[44:45], v[4:5], -v[44:45]
	v_fma_f64 v[4:5], v[4:5], 2.0, -v[44:45]
	v_fma_f64 v[8:9], v[8:9], 2.0, -v[62:63]
	v_add_f64 v[46:47], v[44:45], v[76:77]
	v_add_f64 v[8:9], v[4:5], -v[8:9]
	v_add_f64 v[132:133], v[46:47], v[84:85]
	v_add_f64 v[138:139], v[8:9], v[86:87]
	;; [unrolled: 1-line block ×3, first 2 shown]
	v_fma_f64 v[140:141], v[8:9], 2.0, -v[138:139]
	v_fma_f64 v[44:45], v[44:45], 2.0, -v[46:47]
	;; [unrolled: 1-line block ×4, first 2 shown]
	v_mul_u32_u24_e32 v26, 0x50, v223
	v_fma_f64 v[134:135], v[46:47], 2.0, -v[132:133]
	v_add_f64 v[46:47], v[44:45], -v[100:101]
	v_or_b32_sdwa v26, v26, v224 dst_sel:DWORD dst_unused:UNUSED_PAD src0_sel:DWORD src1_sel:BYTE_0
	v_add_f64 v[46:47], v[102:103], v[46:47]
	v_add_f64 v[8:9], v[4:5], -v[8:9]
	v_lshlrev_b32_e32 v26, 3, v26
	v_fma_f64 v[44:45], v[44:45], 2.0, -v[46:47]
	v_fma_f64 v[4:5], v[4:5], 2.0, -v[8:9]
	v_add3_u32 v26, 0, v26, v218
	ds_write2_b64 v26, v[4:5], v[44:45] offset1:10
	ds_write2_b64 v26, v[140:141], v[134:135] offset0:20 offset1:30
	ds_write2_b64 v26, v[8:9], v[46:47] offset0:40 offset1:50
	;; [unrolled: 1-line block ×3, first 2 shown]
.LBB0_19:
	s_or_b64 exec, exec, s[2:3]
	v_mul_f64 v[4:5], v[10:11], v[36:37]
	v_fma_f64 v[4:5], v[28:29], v[34:35], -v[4:5]
	v_add_f64 v[4:5], v[136:137], -v[4:5]
	v_mul_f64 v[8:9], v[12:13], v[42:43]
	v_mul_f64 v[10:11], v[14:15], v[80:81]
	v_fma_f64 v[12:13], v[136:137], 2.0, -v[4:5]
	v_fma_f64 v[14:15], v[82:83], 2.0, -v[24:25]
	v_add_f64 v[14:15], v[12:13], -v[14:15]
	v_add_f64 v[2:3], v[4:5], -v[2:3]
	v_fma_f64 v[12:13], v[12:13], 2.0, -v[14:15]
	v_fma_f64 v[4:5], v[4:5], 2.0, -v[2:3]
	;; [unrolled: 1-line block ×3, first 2 shown]
	v_fma_f64 v[8:9], v[30:31], v[40:41], -v[8:9]
	v_add_f64 v[82:83], v[12:13], -v[24:25]
	v_add_f64 v[24:25], v[4:5], -v[64:65]
	;; [unrolled: 1-line block ×3, first 2 shown]
	v_add_f64 v[24:25], v[2:3], v[70:71]
	v_add_f64 v[8:9], v[98:99], -v[8:9]
	v_add_f64 v[134:135], v[24:25], -v[66:67]
	v_fma_f64 v[24:25], v[98:99], 2.0, -v[8:9]
	v_fma_f64 v[26:27], v[50:51], 2.0, -v[72:73]
	v_add_f64 v[26:27], v[24:25], -v[26:27]
	v_fma_f64 v[24:25], v[24:25], 2.0, -v[26:27]
	v_add_f64 v[28:29], v[8:9], -v[68:69]
	v_fma_f64 v[30:31], v[90:91], 2.0, -v[94:95]
	v_fma_f64 v[8:9], v[8:9], 2.0, -v[28:29]
	v_add_f64 v[98:99], v[24:25], -v[30:31]
	v_fma_f64 v[10:11], v[32:33], v[78:79], -v[10:11]
	v_fma_f64 v[136:137], v[24:25], 2.0, -v[98:99]
	v_add_f64 v[24:25], v[8:9], -v[104:105]
	v_add_f64 v[104:105], v[24:25], -v[96:97]
	v_add_f64 v[24:25], v[28:29], v[110:111]
	v_add_f64 v[10:11], v[16:17], -v[10:11]
	v_add_f64 v[110:111], v[24:25], -v[106:107]
	v_fma_f64 v[16:17], v[16:17], 2.0, -v[10:11]
	v_fma_f64 v[24:25], v[52:53], 2.0, -v[112:113]
	v_add_f64 v[138:139], v[26:27], -v[92:93]
	v_add_f64 v[24:25], v[16:17], -v[24:25]
	v_fma_f64 v[140:141], v[26:27], 2.0, -v[138:139]
	v_fma_f64 v[146:147], v[28:29], 2.0, -v[110:111]
	v_add_f64 v[26:27], v[10:11], -v[108:109]
	v_fma_f64 v[28:29], v[114:115], 2.0, -v[118:119]
	v_add_f64 v[114:115], v[24:25], -v[116:117]
	v_fma_f64 v[16:17], v[16:17], 2.0, -v[24:25]
	v_fma_f64 v[10:11], v[10:11], 2.0, -v[26:27]
	;; [unrolled: 1-line block ×3, first 2 shown]
	v_add_f64 v[24:25], v[26:27], v[126:127]
	v_add_f64 v[108:109], v[16:17], -v[28:29]
	v_add_f64 v[28:29], v[10:11], -v[122:123]
	;; [unrolled: 1-line block ×3, first 2 shown]
	v_add_u32_e32 v68, 0x800, v215
	v_add_f64 v[132:133], v[14:15], -v[48:49]
	v_add_f64 v[112:113], v[28:29], -v[120:121]
	v_fma_f64 v[120:121], v[26:27], 2.0, -v[118:119]
	s_waitcnt lgkmcnt(0)
	; wave barrier
	s_waitcnt lgkmcnt(0)
	ds_read2_b64 v[24:27], v215 offset0:64 offset1:80
	ds_read2_b64 v[36:39], v215 offset0:160 offset1:176
	;; [unrolled: 1-line block ×6, first 2 shown]
	ds_read2_b64 v[52:55], v68 offset1:16
	ds_read2_b64 v[48:51], v68 offset0:160 offset1:176
	ds_read2_b64 v[94:97], v215 offset0:192 offset1:208
	;; [unrolled: 1-line block ×3, first 2 shown]
	v_add3_u32 v106, 0, v219, v218
	ds_read_b64 v[142:143], v214
	ds_read_b64 v[144:145], v216
	;; [unrolled: 1-line block ×4, first 2 shown]
	ds_read2_b64 v[64:67], v215 offset0:128 offset1:144
	ds_read2_b64 v[78:81], v68 offset0:32 offset1:48
	;; [unrolled: 1-line block ×3, first 2 shown]
	v_fma_f64 v[12:13], v[12:13], 2.0, -v[82:83]
	v_fma_f64 v[4:5], v[4:5], 2.0, -v[60:61]
	;; [unrolled: 1-line block ×7, first 2 shown]
	s_waitcnt lgkmcnt(0)
	; wave barrier
	s_waitcnt lgkmcnt(0)
	ds_write2_b64 v128, v[12:13], v[4:5] offset1:10
	ds_write2_b64 v128, v[14:15], v[2:3] offset0:20 offset1:30
	ds_write2_b64 v128, v[82:83], v[60:61] offset0:40 offset1:50
	ds_write2_b64 v128, v[132:133], v[134:135] offset0:60 offset1:70
	ds_write2_b64 v129, v[136:137], v[8:9] offset1:10
	ds_write2_b64 v129, v[140:141], v[146:147] offset0:20 offset1:30
	ds_write2_b64 v129, v[98:99], v[104:105] offset0:40 offset1:50
	ds_write2_b64 v129, v[138:139], v[110:111] offset0:60 offset1:70
	;; [unrolled: 4-line block ×3, first 2 shown]
	s_and_saveexec_b64 s[2:3], s[0:1]
	s_cbranch_execz .LBB0_21
; %bb.20:
	s_waitcnt vmcnt(0)
	v_mul_f64 v[0:1], v[0:1], v[58:59]
	v_fma_f64 v[0:1], v[22:23], v[56:57], -v[0:1]
	v_add_f64 v[0:1], v[18:19], -v[0:1]
	v_fma_f64 v[2:3], v[18:19], 2.0, -v[0:1]
	v_fma_f64 v[4:5], v[6:7], 2.0, -v[76:77]
	v_add_f64 v[6:7], v[0:1], -v[62:63]
	v_add_f64 v[4:5], v[2:3], -v[4:5]
	v_fma_f64 v[0:1], v[0:1], 2.0, -v[6:7]
	v_mul_u32_u24_e32 v16, 0x50, v223
	v_fma_f64 v[2:3], v[2:3], 2.0, -v[4:5]
	v_fma_f64 v[8:9], v[74:75], 2.0, -v[86:87]
	v_add_f64 v[10:11], v[0:1], -v[102:103]
	v_or_b32_sdwa v16, v16, v224 dst_sel:DWORD dst_unused:UNUSED_PAD src0_sel:DWORD src1_sel:BYTE_0
	v_add_f64 v[8:9], v[2:3], -v[8:9]
	v_add_f64 v[10:11], v[10:11], -v[100:101]
	v_add_f64 v[14:15], v[6:7], v[88:89]
	v_lshlrev_b32_e32 v16, 3, v16
	v_fma_f64 v[2:3], v[2:3], 2.0, -v[8:9]
	v_fma_f64 v[0:1], v[0:1], 2.0, -v[10:11]
	v_add_f64 v[12:13], v[4:5], -v[20:21]
	v_add_f64 v[14:15], v[14:15], -v[84:85]
	v_add3_u32 v16, 0, v16, v218
	v_fma_f64 v[4:5], v[4:5], 2.0, -v[12:13]
	v_fma_f64 v[6:7], v[6:7], 2.0, -v[14:15]
	ds_write2_b64 v16, v[2:3], v[0:1] offset1:10
	ds_write2_b64 v16, v[4:5], v[6:7] offset0:20 offset1:30
	ds_write2_b64 v16, v[8:9], v[10:11] offset0:40 offset1:50
	;; [unrolled: 1-line block ×3, first 2 shown]
.LBB0_21:
	s_or_b64 exec, exec, s[2:3]
	s_waitcnt lgkmcnt(0)
	; wave barrier
	s_waitcnt lgkmcnt(0)
	s_and_saveexec_b64 s[0:1], vcc
	s_cbranch_execz .LBB0_23
; %bb.22:
	v_or_b32_e32 v0, 64, v210
	v_mul_u32_u24_e32 v0, 5, v0
	v_lshlrev_b32_e32 v20, 4, v0
	global_load_dwordx4 v[0:3], v20, s[8:9] offset:1136
	global_load_dwordx4 v[4:7], v20, s[8:9] offset:1168
	;; [unrolled: 1-line block ×5, first 2 shown]
	v_mul_lo_u32 v20, s5, v192
	v_mul_lo_u32 v21, s4, v193
	v_mad_u64_u32 v[146:147], s[0:1], s4, v192, 0
	v_mul_i32_i24_e32 v116, 5, v212
	v_mov_b32_e32 v117, 0
	v_add_u32_e32 v150, 0x800, v215
	v_add3_u32 v147, v147, v21, v20
	v_lshl_add_u64 v[20:21], v[116:117], 4, s[8:9]
	s_waitcnt vmcnt(5)
	ds_read2_b64 v[56:59], v215 offset0:64 offset1:80
	ds_read2_b64 v[60:63], v215 offset0:224 offset1:240
	;; [unrolled: 1-line block ×5, first 2 shown]
	global_load_dwordx4 v[98:101], v[20:21], off offset:1152
	global_load_dwordx4 v[118:121], v[20:21], off offset:1136
	ds_read2_b64 v[102:105], v150 offset0:192 offset1:208
	global_load_dwordx4 v[122:125], v[20:21], off offset:1168
	global_load_dwordx4 v[112:115], v[20:21], off offset:1184
	;; [unrolled: 1-line block ×3, first 2 shown]
	s_mov_b32 s0, 0xe8584caa
	s_mov_b32 s1, 0xbfebb67a
	;; [unrolled: 1-line block ×4, first 2 shown]
	v_mul_i32_i24_e32 v116, 5, v213
	ds_read2_b64 v[138:141], v150 offset0:96 offset1:112
	s_waitcnt vmcnt(9)
	v_mul_f64 v[20:21], v[28:29], v[2:3]
	s_waitcnt vmcnt(8)
	v_mul_f64 v[22:23], v[32:33], v[6:7]
	s_waitcnt lgkmcnt(5)
	v_mul_f64 v[2:3], v[60:61], v[2:3]
	s_waitcnt lgkmcnt(3)
	v_mul_f64 v[6:7], v[74:75], v[6:7]
	s_waitcnt vmcnt(7)
	v_mul_f64 v[126:127], v[10:11], v[84:85]
	s_waitcnt vmcnt(6) lgkmcnt(2)
	v_mul_f64 v[128:129], v[14:15], v[88:89]
	s_waitcnt vmcnt(5) lgkmcnt(1)
	v_mul_f64 v[130:131], v[18:19], v[104:105]
	v_mul_f64 v[14:15], v[80:81], v[14:15]
	;; [unrolled: 1-line block ×4, first 2 shown]
	v_fma_f64 v[20:21], v[0:1], v[60:61], -v[20:21]
	v_fma_f64 v[22:23], v[4:5], v[74:75], -v[22:23]
	v_fmac_f64_e32 v[2:3], v[28:29], v[0:1]
	v_fmac_f64_e32 v[6:7], v[32:33], v[4:5]
	;; [unrolled: 1-line block ×3, first 2 shown]
	v_fma_f64 v[0:1], v[12:13], v[88:89], -v[14:15]
	v_fma_f64 v[4:5], v[16:17], v[104:105], -v[18:19]
	;; [unrolled: 1-line block ×3, first 2 shown]
	v_fmac_f64_e32 v[128:129], v[80:81], v[12:13]
	v_fmac_f64_e32 v[130:131], v[70:71], v[16:17]
	v_add_f64 v[16:17], v[0:1], -v[4:5]
	v_add_f64 v[18:19], v[0:1], v[4:5]
	v_add_f64 v[32:33], v[56:57], v[20:21]
	;; [unrolled: 1-line block ×4, first 2 shown]
	v_add_f64 v[12:13], v[2:3], -v[6:7]
	v_add_f64 v[28:29], v[128:129], -v[130:131]
	v_add_f64 v[60:61], v[2:3], v[6:7]
	v_add_f64 v[20:21], v[20:21], -v[22:23]
	v_add_f64 v[2:3], v[24:25], v[2:3]
	v_fma_f64 v[8:9], -0.5, v[18:19], v[8:9]
	v_add_f64 v[22:23], v[32:33], v[22:23]
	v_add_f64 v[32:33], v[0:1], v[4:5]
	;; [unrolled: 1-line block ×3, first 2 shown]
	v_fma_f64 v[56:57], -0.5, v[10:11], v[56:57]
	v_fma_f64 v[24:25], -0.5, v[60:61], v[24:25]
	v_add_f64 v[60:61], v[2:3], v[6:7]
	v_fma_f64 v[2:3], s[0:1], v[28:29], v[8:9]
	v_fmac_f64_e32 v[8:9], s[2:3], v[28:29]
	v_add_f64 v[10:11], v[22:23], -v[32:33]
	v_add_f64 v[22:23], v[22:23], v[32:33]
	v_lshl_add_u64 v[32:33], v[116:117], 4, s[8:9]
	v_fma_f64 v[14:15], -0.5, v[14:15], v[126:127]
	v_fma_f64 v[18:19], s[0:1], v[12:13], v[56:57]
	v_fmac_f64_e32 v[56:57], s[2:3], v[12:13]
	v_fma_f64 v[12:13], s[2:3], v[20:21], v[24:25]
	v_fmac_f64_e32 v[24:25], s[0:1], v[20:21]
	v_mul_f64 v[20:21], v[8:9], 0.5
	v_mul_f64 v[66:67], v[8:9], s[0:1]
	v_add_f64 v[8:9], v[126:127], v[128:129]
	global_load_dwordx4 v[126:129], v[32:33], off offset:1136
	global_load_dwordx4 v[152:155], v[32:33], off offset:1168
	;; [unrolled: 1-line block ×3, first 2 shown]
	v_add_f64 v[70:71], v[8:9], v[130:131]
	ds_read2_b64 v[130:133], v215 offset0:192 offset1:208
	v_fma_f64 v[0:1], s[2:3], v[16:17], v[14:15]
	v_fmac_f64_e32 v[14:15], s[0:1], v[16:17]
	v_mul_f64 v[16:17], v[2:3], -0.5
	v_mul_f64 v[28:29], v[2:3], s[0:1]
	v_fmac_f64_e32 v[16:17], s[2:3], v[0:1]
	v_fmac_f64_e32 v[66:67], 0.5, v[14:15]
	v_fmac_f64_e32 v[20:21], s[2:3], v[14:15]
	v_fmac_f64_e32 v[28:29], -0.5, v[0:1]
	v_add_f64 v[2:3], v[18:19], -v[16:17]
	v_add_f64 v[4:5], v[24:25], -v[66:67]
	v_add_f64 v[14:15], v[18:19], v[16:17]
	v_add_f64 v[16:17], v[24:25], v[66:67]
	s_waitcnt vmcnt(6)
	v_mul_f64 v[24:25], v[96:97], v[120:121]
	v_add_f64 v[0:1], v[12:13], -v[28:29]
	v_add_f64 v[12:13], v[12:13], v[28:29]
	s_waitcnt lgkmcnt(0)
	v_fma_f64 v[28:29], v[118:119], v[132:133], -v[24:25]
	s_waitcnt vmcnt(5)
	v_mul_f64 v[24:25], v[92:93], v[124:125]
	global_load_dwordx4 v[156:159], v[32:33], off offset:1184
	v_add_f64 v[6:7], v[56:57], -v[20:21]
	v_add_f64 v[8:9], v[60:61], -v[70:71]
	v_add_f64 v[18:19], v[56:57], v[20:21]
	v_add_f64 v[20:21], v[60:61], v[70:71]
	ds_read_b64 v[56:57], v106
	v_fma_f64 v[60:61], v[122:123], v[140:141], -v[24:25]
	ds_read_b64 v[24:25], v217
	global_load_dwordx4 v[104:107], v[32:33], off offset:1120
	v_mul_f64 v[80:81], v[132:133], v[120:121]
	v_fmac_f64_e32 v[80:81], v[96:97], v[118:119]
	v_mul_f64 v[118:119], v[100:101], v[86:87]
	s_waitcnt vmcnt(6)
	v_mul_f64 v[32:33], v[114:115], v[102:103]
	v_add_f64 v[66:67], v[28:29], v[60:61]
	s_waitcnt vmcnt(5)
	v_mul_f64 v[96:97], v[110:111], v[82:83]
	v_fmac_f64_e32 v[118:119], v[78:79], v[98:99]
	v_fmac_f64_e32 v[32:33], v[68:69], v[112:113]
	s_waitcnt lgkmcnt(1)
	v_fma_f64 v[84:85], -0.5, v[66:67], v[56:57]
	v_fmac_f64_e32 v[96:97], v[64:65], v[108:109]
	v_add_f64 v[66:67], v[118:119], v[32:33]
	v_fma_f64 v[120:121], -0.5, v[66:67], v[96:97]
	v_mul_f64 v[66:67], v[78:79], v[100:101]
	v_fma_f64 v[74:75], v[98:99], v[86:87], -v[66:67]
	v_mul_f64 v[66:67], v[68:69], v[114:115]
	v_fma_f64 v[68:69], v[112:113], v[102:103], -v[66:67]
	v_mul_f64 v[64:65], v[64:65], v[110:111]
	v_mul_f64 v[88:89], v[140:141], v[124:125]
	v_fma_f64 v[64:65], v[108:109], v[82:83], -v[64:65]
	v_add_f64 v[66:67], v[74:75], v[68:69]
	v_fmac_f64_e32 v[88:89], v[92:93], v[122:123]
	v_fma_f64 v[82:83], -0.5, v[66:67], v[64:65]
	v_add_f64 v[98:99], v[118:119], -v[32:33]
	v_add_f64 v[64:65], v[64:65], v[74:75]
	v_fma_f64 v[100:101], s[0:1], v[98:99], v[82:83]
	v_fmac_f64_e32 v[82:83], s[2:3], v[98:99]
	v_add_f64 v[98:99], v[64:65], v[68:69]
	v_add_f64 v[64:65], v[80:81], v[88:89]
	v_add_f64 v[78:79], v[74:75], -v[68:69]
	v_add_f64 v[56:57], v[56:57], v[28:29]
	v_fma_f64 v[108:109], -0.5, v[64:65], v[72:73]
	v_add_f64 v[28:29], v[28:29], -v[60:61]
	v_fma_f64 v[86:87], s[2:3], v[78:79], v[120:121]
	v_mul_f64 v[102:103], v[100:101], -0.5
	v_fmac_f64_e32 v[120:121], s[0:1], v[78:79]
	v_add_f64 v[56:57], v[56:57], v[60:61]
	v_fma_f64 v[60:61], s[2:3], v[28:29], v[108:109]
	v_mul_f64 v[100:101], v[100:101], s[0:1]
	v_fmac_f64_e32 v[108:109], s[0:1], v[28:29]
	v_mul_f64 v[28:29], v[82:83], s[0:1]
	v_add_f64 v[72:73], v[72:73], v[80:81]
	v_add_f64 v[70:71], v[80:81], -v[88:89]
	v_fmac_f64_e32 v[102:103], s[2:3], v[86:87]
	v_mul_f64 v[78:79], v[82:83], 0.5
	v_fmac_f64_e32 v[100:101], -0.5, v[86:87]
	v_fmac_f64_e32 v[28:29], 0.5, v[120:121]
	v_add_f64 v[86:87], v[72:73], v[88:89]
	v_add_f64 v[72:73], v[96:97], v[118:119]
	v_fma_f64 v[92:93], s[0:1], v[70:71], v[84:85]
	v_fmac_f64_e32 v[84:85], s[2:3], v[70:71]
	v_fmac_f64_e32 v[78:79], s[2:3], v[120:121]
	v_add_f64 v[68:69], v[108:109], -v[28:29]
	v_add_f64 v[32:33], v[72:73], v[32:33]
	v_add_f64 v[82:83], v[108:109], v[28:29]
	s_waitcnt vmcnt(4)
	v_mul_f64 v[28:29], v[94:95], v[128:129]
	v_mul_i32_i24_e32 v116, 5, v211
	v_add_f64 v[70:71], v[84:85], -v[78:79]
	v_add_f64 v[74:75], v[56:57], -v[98:99]
	;; [unrolled: 1-line block ×4, first 2 shown]
	v_add_f64 v[84:85], v[84:85], v[78:79]
	v_add_f64 v[88:89], v[56:57], v[98:99]
	;; [unrolled: 1-line block ×4, first 2 shown]
	v_fma_f64 v[32:33], v[126:127], v[130:131], -v[28:29]
	v_lshl_add_u64 v[56:57], v[116:117], 4, s[8:9]
	s_waitcnt vmcnt(3)
	v_mul_f64 v[28:29], v[90:91], v[154:155]
	v_mul_f64 v[100:101], v[130:131], v[128:129]
	global_load_dwordx4 v[110:113], v[56:57], off offset:1152
	global_load_dwordx4 v[122:125], v[56:57], off offset:1136
	v_fma_f64 v[60:61], v[152:153], v[138:139], -v[28:29]
	v_fmac_f64_e32 v[100:101], v[94:95], v[126:127]
	v_mul_f64 v[94:95], v[138:139], v[154:155]
	ds_read2_b64 v[130:133], v150 offset1:16
	ds_read2_b64 v[138:141], v150 offset0:160 offset1:176
	ds_read2_b64 v[114:117], v215 offset0:96 offset1:112
	global_load_dwordx4 v[118:121], v[56:57], off offset:1168
	global_load_dwordx4 v[126:129], v[56:57], off offset:1120
	s_waitcnt vmcnt(6) lgkmcnt(2)
	v_mul_f64 v[160:161], v[136:137], v[132:133]
	s_waitcnt vmcnt(5) lgkmcnt(1)
	v_mul_f64 v[162:163], v[158:159], v[140:141]
	;; [unrolled: 2-line block ×3, first 2 shown]
	v_fmac_f64_e32 v[160:161], v[54:55], v[134:135]
	v_fmac_f64_e32 v[162:163], v[50:51], v[156:157]
	v_mul_f64 v[54:55], v[54:55], v[136:137]
	v_mul_f64 v[50:51], v[50:51], v[158:159]
	v_fmac_f64_e32 v[94:95], v[90:91], v[152:153]
	v_fmac_f64_e32 v[108:109], v[46:47], v[104:105]
	global_load_dwordx4 v[152:155], v[56:57], off offset:1184
	v_add_f64 v[56:57], v[160:161], v[162:163]
	v_fma_f64 v[54:55], v[134:135], v[132:133], -v[54:55]
	v_fma_f64 v[50:51], v[156:157], v[140:141], -v[50:51]
	v_mul_f64 v[46:47], v[46:47], v[106:107]
	v_fma_f64 v[164:165], -0.5, v[56:57], v[108:109]
	v_fma_f64 v[46:47], v[104:105], v[116:117], -v[46:47]
	v_add_f64 v[56:57], v[54:55], v[50:51]
	v_add_f64 v[66:67], v[92:93], -v[102:103]
	v_add_f64 v[80:81], v[92:93], v[102:103]
	v_add_f64 v[92:93], v[32:33], v[60:61]
	v_fma_f64 v[104:105], -0.5, v[56:57], v[46:47]
	v_add_f64 v[96:97], v[160:161], -v[162:163]
	v_fma_f64 v[98:99], -0.5, v[92:93], v[24:25]
	v_add_f64 v[92:93], v[54:55], -v[50:51]
	v_fma_f64 v[106:107], s[0:1], v[96:97], v[104:105]
	v_fmac_f64_e32 v[104:105], s[2:3], v[96:97]
	v_add_f64 v[46:47], v[46:47], v[54:55]
	v_add_f64 v[90:91], v[100:101], -v[94:95]
	v_fma_f64 v[132:133], s[2:3], v[92:93], v[164:165]
	v_fmac_f64_e32 v[164:165], s[0:1], v[92:93]
	v_mul_f64 v[134:135], v[104:105], 0.5
	v_add_f64 v[46:47], v[46:47], v[50:51]
	v_add_f64 v[50:51], v[100:101], v[94:95]
	v_fma_f64 v[102:103], s[0:1], v[90:91], v[98:99]
	v_mul_f64 v[116:117], v[106:107], -0.5
	v_fmac_f64_e32 v[98:99], s[2:3], v[90:91]
	v_fmac_f64_e32 v[134:135], s[2:3], v[164:165]
	v_add_f64 v[24:25], v[24:25], v[32:33]
	v_fma_f64 v[50:51], -0.5, v[50:51], v[148:149]
	v_add_f64 v[32:33], v[32:33], -v[60:61]
	v_fmac_f64_e32 v[116:117], s[2:3], v[132:133]
	v_add_f64 v[92:93], v[98:99], -v[134:135]
	v_add_f64 v[24:25], v[24:25], v[60:61]
	v_fma_f64 v[60:61], s[2:3], v[32:33], v[50:51]
	v_fmac_f64_e32 v[50:51], s[0:1], v[32:33]
	v_mul_f64 v[32:33], v[104:105], s[0:1]
	v_add_f64 v[100:101], v[148:149], v[100:101]
	v_add_f64 v[104:105], v[98:99], v[134:135]
	v_mul_u32_u24_e32 v98, 5, v210
	v_add_f64 v[56:57], v[102:103], -v[116:117]
	v_mul_f64 v[106:107], v[106:107], s[0:1]
	v_add_f64 v[136:137], v[100:101], v[94:95]
	v_add_f64 v[100:101], v[102:103], v[116:117]
	v_lshlrev_b32_e32 v116, 4, v98
	v_fmac_f64_e32 v[106:107], -0.5, v[132:133]
	global_load_dwordx4 v[132:135], v116, s[8:9] offset:1136
	global_load_dwordx4 v[156:159], v116, s[8:9] offset:1168
	;; [unrolled: 1-line block ×4, first 2 shown]
	v_fmac_f64_e32 v[32:33], 0.5, v[164:165]
	global_load_dwordx4 v[164:167], v116, s[8:9] offset:1120
	v_add_f64 v[94:95], v[108:109], v[160:161]
	v_add_f64 v[140:141], v[94:95], v[162:163]
	ds_read2_b64 v[160:163], v215 offset0:160 offset1:176
	ds_read2_b64 v[148:151], v150 offset0:64 offset1:80
	ds_read_b64 v[28:29], v216
	v_add_f64 v[96:97], v[24:25], -v[46:47]
	v_add_f64 v[90:91], v[50:51], -v[32:33]
	v_add_f64 v[108:109], v[24:25], v[46:47]
	v_add_f64 v[102:103], v[50:51], v[32:33]
	v_add_f64 v[54:55], v[60:61], -v[106:107]
	s_waitcnt vmcnt(8)
	v_mul_f64 v[24:25], v[38:39], v[124:125]
	s_waitcnt lgkmcnt(2)
	v_mul_f64 v[50:51], v[162:163], v[124:125]
	v_fma_f64 v[24:25], v[122:123], v[162:163], -v[24:25]
	v_fmac_f64_e32 v[50:51], v[38:39], v[122:123]
	v_mul_f64 v[122:123], v[112:113], v[130:131]
	v_fmac_f64_e32 v[122:123], v[52:53], v[110:111]
	v_mul_f64 v[52:53], v[52:53], v[112:113]
	s_waitcnt vmcnt(7)
	v_mul_f64 v[32:33], v[42:43], v[120:121]
	s_waitcnt lgkmcnt(1)
	v_fma_f64 v[32:33], v[118:119], v[150:151], -v[32:33]
	v_mul_f64 v[38:39], v[150:151], v[120:121]
	s_waitcnt vmcnt(6)
	v_mul_f64 v[120:121], v[128:129], v[114:115]
	v_add_f64 v[46:47], v[24:25], v[32:33]
	v_fmac_f64_e32 v[38:39], v[42:43], v[118:119]
	v_fmac_f64_e32 v[120:121], v[44:45], v[126:127]
	v_mul_f64 v[44:45], v[44:45], v[128:129]
	v_add_f64 v[98:99], v[60:61], v[106:107]
	ds_read_b64 v[60:61], v214
	s_waitcnt lgkmcnt(1)
	v_fma_f64 v[116:117], -0.5, v[46:47], v[28:29]
	s_waitcnt vmcnt(5)
	v_mul_f64 v[124:125], v[154:155], v[138:139]
	v_fmac_f64_e32 v[124:125], v[48:49], v[152:153]
	v_mul_f64 v[48:49], v[48:49], v[154:155]
	v_add_f64 v[42:43], v[50:51], -v[38:39]
	v_fma_f64 v[52:53], v[110:111], v[130:131], -v[52:53]
	v_fma_f64 v[110:111], v[152:153], v[138:139], -v[48:49]
	;; [unrolled: 1-line block ×3, first 2 shown]
	v_fma_f64 v[118:119], s[0:1], v[42:43], v[116:117]
	v_add_f64 v[44:45], v[52:53], v[110:111]
	v_fmac_f64_e32 v[116:117], s[2:3], v[42:43]
	v_add_f64 v[42:43], v[114:115], v[52:53]
	v_add_f64 v[46:47], v[122:123], v[124:125]
	v_add_f64 v[48:49], v[52:53], -v[110:111]
	v_fma_f64 v[126:127], -0.5, v[44:45], v[114:115]
	v_add_f64 v[128:129], v[122:123], -v[124:125]
	v_add_f64 v[110:111], v[42:43], v[110:111]
	v_add_f64 v[42:43], v[50:51], v[38:39]
	v_fma_f64 v[46:47], -0.5, v[46:47], v[120:121]
	v_fma_f64 v[130:131], s[0:1], v[128:129], v[126:127]
	v_fmac_f64_e32 v[126:127], s[2:3], v[128:129]
	v_add_f64 v[28:29], v[28:29], v[24:25]
	v_fma_f64 v[114:115], -0.5, v[42:43], v[144:145]
	v_add_f64 v[24:25], v[24:25], -v[32:33]
	v_fma_f64 v[112:113], s[2:3], v[48:49], v[46:47]
	v_fmac_f64_e32 v[46:47], s[0:1], v[48:49]
	v_add_f64 v[28:29], v[28:29], v[32:33]
	v_fma_f64 v[32:33], s[2:3], v[24:25], v[114:115]
	v_fmac_f64_e32 v[114:115], s[0:1], v[24:25]
	v_mul_f64 v[24:25], v[126:127], s[0:1]
	v_add_f64 v[50:51], v[144:145], v[50:51]
	v_add_f64 v[94:95], v[136:137], -v[140:141]
	v_add_f64 v[106:107], v[136:137], v[140:141]
	v_mul_f64 v[136:137], v[130:131], -0.5
	v_mul_f64 v[128:129], v[126:127], 0.5
	v_mul_f64 v[130:131], v[130:131], s[0:1]
	v_fmac_f64_e32 v[24:25], 0.5, v[46:47]
	v_add_f64 v[38:39], v[50:51], v[38:39]
	v_add_f64 v[50:51], v[120:121], v[122:123]
	v_fmac_f64_e32 v[136:137], s[2:3], v[112:113]
	v_fmac_f64_e32 v[128:129], s[2:3], v[46:47]
	v_add_f64 v[52:53], v[28:29], -v[110:111]
	v_fmac_f64_e32 v[130:131], -0.5, v[112:113]
	v_add_f64 v[46:47], v[114:115], -v[24:25]
	v_add_f64 v[122:123], v[50:51], v[124:125]
	v_add_f64 v[120:121], v[28:29], v[110:111]
	;; [unrolled: 1-line block ×3, first 2 shown]
	s_waitcnt vmcnt(4)
	v_mul_f64 v[24:25], v[36:37], v[134:135]
	s_waitcnt vmcnt(3)
	v_mul_f64 v[28:29], v[40:41], v[158:159]
	v_mul_f64 v[124:125], v[160:161], v[134:135]
	v_add_f64 v[44:45], v[118:119], -v[136:137]
	v_add_f64 v[42:43], v[32:33], -v[130:131]
	v_add_f64 v[50:51], v[38:39], -v[122:123]
	v_add_f64 v[112:113], v[118:119], v[136:137]
	v_add_f64 v[110:111], v[32:33], v[130:131]
	v_add_f64 v[118:119], v[38:39], v[122:123]
	v_fma_f64 v[24:25], v[160:161], v[132:133], -v[24:25]
	v_fma_f64 v[38:39], v[156:157], v[148:149], -v[28:29]
	v_fmac_f64_e32 v[124:125], v[36:37], v[132:133]
	s_waitcnt vmcnt(2)
	v_mul_f64 v[130:131], v[170:171], v[62:63]
	s_waitcnt vmcnt(1)
	v_mul_f64 v[132:133], v[174:175], v[76:77]
	v_add_f64 v[48:49], v[116:117], -v[128:129]
	v_add_f64 v[116:117], v[116:117], v[128:129]
	v_add_f64 v[28:29], v[24:25], v[38:39]
	s_waitcnt vmcnt(0)
	v_mul_f64 v[128:129], v[26:27], v[164:165]
	v_fmac_f64_e32 v[130:131], v[30:31], v[168:169]
	v_fmac_f64_e32 v[132:133], v[34:35], v[172:173]
	s_waitcnt lgkmcnt(0)
	v_fma_f64 v[122:123], -0.5, v[28:29], v[60:61]
	v_fmac_f64_e32 v[128:129], v[58:59], v[166:167]
	v_add_f64 v[28:29], v[130:131], v[132:133]
	v_fma_f64 v[134:135], -0.5, v[28:29], v[128:129]
	v_mul_f64 v[28:29], v[30:31], v[170:171]
	v_fma_f64 v[30:31], v[168:169], v[62:63], -v[28:29]
	v_mul_f64 v[28:29], v[34:35], v[174:175]
	v_fma_f64 v[34:35], v[172:173], v[76:77], -v[28:29]
	v_mul_f64 v[26:27], v[26:27], v[166:167]
	v_mul_f64 v[126:127], v[148:149], v[158:159]
	v_fma_f64 v[26:27], v[58:59], v[164:165], -v[26:27]
	v_add_f64 v[28:29], v[30:31], v[34:35]
	v_fmac_f64_e32 v[126:127], v[40:41], v[156:157]
	v_fma_f64 v[58:59], -0.5, v[28:29], v[26:27]
	v_add_f64 v[26:27], v[26:27], v[30:31]
	v_add_f64 v[36:37], v[30:31], -v[34:35]
	v_add_f64 v[76:77], v[130:131], -v[132:133]
	v_add_f64 v[144:145], v[26:27], v[34:35]
	v_add_f64 v[26:27], v[124:125], v[126:127]
	v_fma_f64 v[62:63], s[2:3], v[36:37], v[134:135]
	v_fma_f64 v[136:137], s[0:1], v[76:77], v[58:59]
	v_fmac_f64_e32 v[134:135], s[0:1], v[36:37]
	v_fmac_f64_e32 v[58:59], s[2:3], v[76:77]
	v_add_f64 v[36:37], v[60:61], v[24:25]
	v_fma_f64 v[148:149], -0.5, v[26:27], v[142:143]
	v_add_f64 v[24:25], v[24:25], -v[38:39]
	v_add_f64 v[32:33], v[124:125], -v[126:127]
	v_add_f64 v[140:141], v[36:37], v[38:39]
	v_fma_f64 v[38:39], s[2:3], v[24:25], v[148:149]
	v_fmac_f64_e32 v[148:149], s[0:1], v[24:25]
	v_mul_f64 v[24:25], v[58:59], s[0:1]
	v_fma_f64 v[40:41], s[0:1], v[32:33], v[122:123]
	v_mul_f64 v[138:139], v[136:137], -0.5
	v_mul_f64 v[136:137], v[136:137], s[0:1]
	v_fmac_f64_e32 v[24:25], 0.5, v[134:135]
	s_mov_b32 s0, 0xcccccccd
	v_mul_f64 v[76:77], v[58:59], 0.5
	v_add_f64 v[30:31], v[148:149], -v[24:25]
	v_add_f64 v[34:35], v[142:143], v[124:125]
	v_add_f64 v[58:59], v[148:149], v[24:25]
	v_mul_hi_u32 v24, v210, s0
	v_fmac_f64_e32 v[138:139], s[2:3], v[62:63]
	v_fmac_f64_e32 v[136:137], -0.5, v[62:63]
	v_add_f64 v[62:63], v[34:35], v[126:127]
	v_add_f64 v[34:35], v[128:129], v[130:131]
	v_lshrrev_b32_e32 v24, 6, v24
	s_movk_i32 s1, 0x50
	v_fmac_f64_e32 v[122:123], s[2:3], v[32:33]
	v_fmac_f64_e32 v[76:77], s[2:3], v[134:135]
	v_add_f64 v[126:127], v[34:35], v[132:133]
	v_mul_lo_u32 v24, v24, s1
	v_add_f64 v[32:33], v[122:123], -v[76:77]
	v_add_f64 v[34:35], v[62:63], -v[126:127]
	v_add_f64 v[60:61], v[122:123], v[76:77]
	v_add_f64 v[122:123], v[62:63], v[126:127]
	v_sub_u32_e32 v126, v210, v24
	v_mad_u64_u32 v[62:63], s[2:3], s16, v126, 0
	v_mov_b32_e32 v24, v63
	v_mad_u64_u32 v[24:25], s[2:3], s17, v126, v[24:25]
	v_mov_b32_e32 v63, v24
	v_lshl_add_u64 v[24:25], v[146:147], 4, s[6:7]
	v_lshl_add_u64 v[24:25], v[190:191], 4, v[24:25]
	v_add_f64 v[124:125], v[140:141], v[144:145]
	v_lshl_add_u64 v[62:63], v[62:63], 4, v[24:25]
	v_add_u32_e32 v77, 0x50, v126
	global_store_dwordx4 v[62:63], v[122:125], off
	v_mad_u64_u32 v[62:63], s[2:3], s16, v77, 0
	v_mov_b32_e32 v76, v63
	v_mad_u64_u32 v[76:77], s[2:3], s17, v77, v[76:77]
	v_mov_b32_e32 v63, v76
	v_lshl_add_u64 v[62:63], v[62:63], 4, v[24:25]
	global_store_dwordx4 v[62:63], v[58:61], off
	v_add_f64 v[28:29], v[40:41], -v[138:139]
	v_add_f64 v[26:27], v[38:39], -v[136:137]
	v_add_u32_e32 v61, 0xa0, v126
	v_mad_u64_u32 v[58:59], s[2:3], s16, v61, 0
	v_mov_b32_e32 v60, v59
	v_mad_u64_u32 v[60:61], s[2:3], s17, v61, v[60:61]
	v_mov_b32_e32 v59, v60
	v_add_f64 v[40:41], v[40:41], v[138:139]
	v_add_f64 v[38:39], v[38:39], v[136:137]
	v_lshl_add_u64 v[58:59], v[58:59], 4, v[24:25]
	global_store_dwordx4 v[58:59], v[38:41], off
	v_add_f64 v[36:37], v[140:141], -v[144:145]
	s_nop 0
	v_add_u32_e32 v41, 0xf0, v126
	v_mad_u64_u32 v[38:39], s[2:3], s16, v41, 0
	v_mov_b32_e32 v40, v39
	v_mad_u64_u32 v[40:41], s[2:3], s17, v41, v[40:41]
	v_mov_b32_e32 v39, v40
	v_lshl_add_u64 v[38:39], v[38:39], 4, v[24:25]
	global_store_dwordx4 v[38:39], v[34:37], off
	s_nop 1
	v_add_u32_e32 v37, 0x140, v126
	v_mad_u64_u32 v[34:35], s[2:3], s16, v37, 0
	v_mov_b32_e32 v36, v35
	v_mad_u64_u32 v[36:37], s[2:3], s17, v37, v[36:37]
	v_mov_b32_e32 v35, v36
	v_lshl_add_u64 v[34:35], v[34:35], 4, v[24:25]
	global_store_dwordx4 v[34:35], v[30:33], off
	;; [unrolled: 8-line block ×3, first 2 shown]
	s_movk_i32 s2, 0x1e0
	s_nop 0
	v_add_u32_e32 v26, 16, v210
	v_mul_hi_u32 v27, v26, s0
	v_lshrrev_b32_e32 v27, 6, v27
	v_mul_lo_u32 v28, v27, s1
	v_sub_u32_e32 v26, v26, v28
	v_mad_u64_u32 v[26:27], s[4:5], v27, s2, v[26:27]
	v_mad_u64_u32 v[28:29], s[4:5], s16, v26, 0
	v_mov_b32_e32 v30, v29
	v_mad_u64_u32 v[30:31], s[4:5], s17, v26, v[30:31]
	v_mov_b32_e32 v29, v30
	v_lshl_add_u64 v[28:29], v[28:29], 4, v[24:25]
	v_add_u32_e32 v27, 0x50, v26
	global_store_dwordx4 v[28:29], v[118:121], off
	v_mad_u64_u32 v[28:29], s[4:5], s16, v27, 0
	v_mov_b32_e32 v30, v29
	v_mad_u64_u32 v[30:31], s[4:5], s17, v27, v[30:31]
	v_mov_b32_e32 v29, v30
	v_lshl_add_u64 v[28:29], v[28:29], 4, v[24:25]
	v_add_u32_e32 v27, 0xa0, v26
	global_store_dwordx4 v[28:29], v[114:117], off
	v_mad_u64_u32 v[28:29], s[4:5], s16, v27, 0
	v_mov_b32_e32 v30, v29
	v_mad_u64_u32 v[30:31], s[4:5], s17, v27, v[30:31]
	v_mov_b32_e32 v29, v30
	v_lshl_add_u64 v[28:29], v[28:29], 4, v[24:25]
	v_add_u32_e32 v27, 0xf0, v26
	global_store_dwordx4 v[28:29], v[110:113], off
	v_mad_u64_u32 v[28:29], s[4:5], s16, v27, 0
	v_mov_b32_e32 v30, v29
	v_mad_u64_u32 v[30:31], s[4:5], s17, v27, v[30:31]
	v_mov_b32_e32 v29, v30
	v_lshl_add_u64 v[28:29], v[28:29], 4, v[24:25]
	v_add_u32_e32 v27, 0x140, v26
	global_store_dwordx4 v[28:29], v[50:53], off
	v_mad_u64_u32 v[28:29], s[4:5], s16, v27, 0
	v_mov_b32_e32 v30, v29
	v_mad_u64_u32 v[30:31], s[4:5], s17, v27, v[30:31]
	v_mov_b32_e32 v29, v30
	v_lshl_add_u64 v[28:29], v[28:29], 4, v[24:25]
	global_store_dwordx4 v[28:29], v[46:49], off
	v_add_u32_e32 v29, 0x190, v26
	v_mad_u64_u32 v[26:27], s[4:5], s16, v29, 0
	v_mov_b32_e32 v28, v27
	v_mad_u64_u32 v[28:29], s[4:5], s17, v29, v[28:29]
	v_mov_b32_e32 v27, v28
	v_lshl_add_u64 v[26:27], v[26:27], 4, v[24:25]
	global_store_dwordx4 v[26:27], v[42:45], off
	v_add_u32_e32 v26, 32, v210
	v_mul_hi_u32 v27, v26, s0
	v_lshrrev_b32_e32 v27, 6, v27
	v_mul_lo_u32 v28, v27, s1
	v_sub_u32_e32 v26, v26, v28
	v_mad_u64_u32 v[26:27], s[4:5], v27, s2, v[26:27]
	v_mad_u64_u32 v[28:29], s[4:5], s16, v26, 0
	v_mov_b32_e32 v30, v29
	v_mad_u64_u32 v[30:31], s[4:5], s17, v26, v[30:31]
	v_mov_b32_e32 v29, v30
	v_lshl_add_u64 v[28:29], v[28:29], 4, v[24:25]
	v_add_u32_e32 v27, 0x50, v26
	global_store_dwordx4 v[28:29], v[106:109], off
	v_mad_u64_u32 v[28:29], s[4:5], s16, v27, 0
	v_mov_b32_e32 v30, v29
	v_mad_u64_u32 v[30:31], s[4:5], s17, v27, v[30:31]
	v_mov_b32_e32 v29, v30
	v_lshl_add_u64 v[28:29], v[28:29], 4, v[24:25]
	v_add_u32_e32 v27, 0xa0, v26
	global_store_dwordx4 v[28:29], v[102:105], off
	v_mad_u64_u32 v[28:29], s[4:5], s16, v27, 0
	v_mov_b32_e32 v30, v29
	v_mad_u64_u32 v[30:31], s[4:5], s17, v27, v[30:31]
	v_mov_b32_e32 v29, v30
	v_lshl_add_u64 v[28:29], v[28:29], 4, v[24:25]
	v_add_u32_e32 v27, 0xf0, v26
	global_store_dwordx4 v[28:29], v[98:101], off
	v_mad_u64_u32 v[28:29], s[4:5], s16, v27, 0
	v_mov_b32_e32 v30, v29
	v_mad_u64_u32 v[30:31], s[4:5], s17, v27, v[30:31]
	v_mov_b32_e32 v29, v30
	v_lshl_add_u64 v[28:29], v[28:29], 4, v[24:25]
	v_add_u32_e32 v27, 0x140, v26
	global_store_dwordx4 v[28:29], v[94:97], off
	v_mad_u64_u32 v[28:29], s[4:5], s16, v27, 0
	v_mov_b32_e32 v30, v29
	v_mad_u64_u32 v[30:31], s[4:5], s17, v27, v[30:31]
	v_mov_b32_e32 v29, v30
	v_lshl_add_u64 v[28:29], v[28:29], 4, v[24:25]
	global_store_dwordx4 v[28:29], v[90:93], off
	v_add_u32_e32 v29, 0x190, v26
	v_mad_u64_u32 v[26:27], s[4:5], s16, v29, 0
	v_mov_b32_e32 v28, v27
	v_mad_u64_u32 v[28:29], s[4:5], s17, v29, v[28:29]
	v_mov_b32_e32 v27, v28
	v_lshl_add_u64 v[26:27], v[26:27], 4, v[24:25]
	global_store_dwordx4 v[26:27], v[54:57], off
	;; [unrolled: 47-line block ×3, first 2 shown]
	v_add_u32_e32 v26, 64, v210
	v_mul_hi_u32 v27, v26, s0
	v_lshrrev_b32_e32 v27, 6, v27
	v_mul_lo_u32 v28, v27, s1
	v_sub_u32_e32 v26, v26, v28
	v_mad_u64_u32 v[26:27], s[0:1], v27, s2, v[26:27]
	v_mad_u64_u32 v[28:29], s[0:1], s16, v26, 0
	v_mov_b32_e32 v30, v29
	v_mad_u64_u32 v[30:31], s[0:1], s17, v26, v[30:31]
	v_mov_b32_e32 v29, v30
	v_lshl_add_u64 v[28:29], v[28:29], 4, v[24:25]
	global_store_dwordx4 v[28:29], v[20:23], off
	s_nop 1
	v_add_u32_e32 v23, 0x50, v26
	v_mad_u64_u32 v[20:21], s[0:1], s16, v23, 0
	v_mov_b32_e32 v22, v21
	v_mad_u64_u32 v[22:23], s[0:1], s17, v23, v[22:23]
	v_mov_b32_e32 v21, v22
	v_lshl_add_u64 v[20:21], v[20:21], 4, v[24:25]
	global_store_dwordx4 v[20:21], v[16:19], off
	s_nop 1
	v_add_u32_e32 v19, 0xa0, v26
	;; [unrolled: 8-line block ×5, first 2 shown]
	v_mad_u64_u32 v[4:5], s[0:1], s16, v7, 0
	v_mov_b32_e32 v6, v5
	v_mad_u64_u32 v[6:7], s[0:1], s17, v7, v[6:7]
	v_mov_b32_e32 v5, v6
	v_lshl_add_u64 v[4:5], v[4:5], 4, v[24:25]
	global_store_dwordx4 v[4:5], v[0:3], off
.LBB0_23:
	s_endpgm
	.section	.rodata,"a",@progbits
	.p2align	6, 0x0
	.amdhsa_kernel fft_rtc_back_len480_factors_10_8_6_wgs_64_tpt_16_halfLds_dp_op_CI_CI_sbrr_dirReg
		.amdhsa_group_segment_fixed_size 0
		.amdhsa_private_segment_fixed_size 0
		.amdhsa_kernarg_size 104
		.amdhsa_user_sgpr_count 2
		.amdhsa_user_sgpr_dispatch_ptr 0
		.amdhsa_user_sgpr_queue_ptr 0
		.amdhsa_user_sgpr_kernarg_segment_ptr 1
		.amdhsa_user_sgpr_dispatch_id 0
		.amdhsa_user_sgpr_kernarg_preload_length 0
		.amdhsa_user_sgpr_kernarg_preload_offset 0
		.amdhsa_user_sgpr_private_segment_size 0
		.amdhsa_uses_dynamic_stack 0
		.amdhsa_enable_private_segment 0
		.amdhsa_system_sgpr_workgroup_id_x 1
		.amdhsa_system_sgpr_workgroup_id_y 0
		.amdhsa_system_sgpr_workgroup_id_z 0
		.amdhsa_system_sgpr_workgroup_info 0
		.amdhsa_system_vgpr_workitem_id 0
		.amdhsa_next_free_vgpr 256
		.amdhsa_next_free_sgpr 32
		.amdhsa_accum_offset 256
		.amdhsa_reserve_vcc 1
		.amdhsa_float_round_mode_32 0
		.amdhsa_float_round_mode_16_64 0
		.amdhsa_float_denorm_mode_32 3
		.amdhsa_float_denorm_mode_16_64 3
		.amdhsa_dx10_clamp 1
		.amdhsa_ieee_mode 1
		.amdhsa_fp16_overflow 0
		.amdhsa_tg_split 0
		.amdhsa_exception_fp_ieee_invalid_op 0
		.amdhsa_exception_fp_denorm_src 0
		.amdhsa_exception_fp_ieee_div_zero 0
		.amdhsa_exception_fp_ieee_overflow 0
		.amdhsa_exception_fp_ieee_underflow 0
		.amdhsa_exception_fp_ieee_inexact 0
		.amdhsa_exception_int_div_zero 0
	.end_amdhsa_kernel
	.text
.Lfunc_end0:
	.size	fft_rtc_back_len480_factors_10_8_6_wgs_64_tpt_16_halfLds_dp_op_CI_CI_sbrr_dirReg, .Lfunc_end0-fft_rtc_back_len480_factors_10_8_6_wgs_64_tpt_16_halfLds_dp_op_CI_CI_sbrr_dirReg
                                        ; -- End function
	.section	.AMDGPU.csdata,"",@progbits
; Kernel info:
; codeLenInByte = 15032
; NumSgprs: 38
; NumVgprs: 256
; NumAgprs: 0
; TotalNumVgprs: 256
; ScratchSize: 0
; MemoryBound: 1
; FloatMode: 240
; IeeeMode: 1
; LDSByteSize: 0 bytes/workgroup (compile time only)
; SGPRBlocks: 4
; VGPRBlocks: 31
; NumSGPRsForWavesPerEU: 38
; NumVGPRsForWavesPerEU: 256
; AccumOffset: 256
; Occupancy: 2
; WaveLimiterHint : 1
; COMPUTE_PGM_RSRC2:SCRATCH_EN: 0
; COMPUTE_PGM_RSRC2:USER_SGPR: 2
; COMPUTE_PGM_RSRC2:TRAP_HANDLER: 0
; COMPUTE_PGM_RSRC2:TGID_X_EN: 1
; COMPUTE_PGM_RSRC2:TGID_Y_EN: 0
; COMPUTE_PGM_RSRC2:TGID_Z_EN: 0
; COMPUTE_PGM_RSRC2:TIDIG_COMP_CNT: 0
; COMPUTE_PGM_RSRC3_GFX90A:ACCUM_OFFSET: 63
; COMPUTE_PGM_RSRC3_GFX90A:TG_SPLIT: 0
	.text
	.p2alignl 6, 3212836864
	.fill 256, 4, 3212836864
	.type	__hip_cuid_b5536ce0e1a5ea38,@object ; @__hip_cuid_b5536ce0e1a5ea38
	.section	.bss,"aw",@nobits
	.globl	__hip_cuid_b5536ce0e1a5ea38
__hip_cuid_b5536ce0e1a5ea38:
	.byte	0                               ; 0x0
	.size	__hip_cuid_b5536ce0e1a5ea38, 1

	.ident	"AMD clang version 19.0.0git (https://github.com/RadeonOpenCompute/llvm-project roc-6.4.0 25133 c7fe45cf4b819c5991fe208aaa96edf142730f1d)"
	.section	".note.GNU-stack","",@progbits
	.addrsig
	.addrsig_sym __hip_cuid_b5536ce0e1a5ea38
	.amdgpu_metadata
---
amdhsa.kernels:
  - .agpr_count:     0
    .args:
      - .actual_access:  read_only
        .address_space:  global
        .offset:         0
        .size:           8
        .value_kind:     global_buffer
      - .offset:         8
        .size:           8
        .value_kind:     by_value
      - .actual_access:  read_only
        .address_space:  global
        .offset:         16
        .size:           8
        .value_kind:     global_buffer
      - .actual_access:  read_only
        .address_space:  global
        .offset:         24
        .size:           8
        .value_kind:     global_buffer
      - .actual_access:  read_only
        .address_space:  global
        .offset:         32
        .size:           8
        .value_kind:     global_buffer
      - .offset:         40
        .size:           8
        .value_kind:     by_value
      - .actual_access:  read_only
        .address_space:  global
        .offset:         48
        .size:           8
        .value_kind:     global_buffer
      - .actual_access:  read_only
        .address_space:  global
        .offset:         56
        .size:           8
        .value_kind:     global_buffer
      - .offset:         64
        .size:           4
        .value_kind:     by_value
      - .actual_access:  read_only
        .address_space:  global
        .offset:         72
        .size:           8
        .value_kind:     global_buffer
      - .actual_access:  read_only
        .address_space:  global
        .offset:         80
        .size:           8
        .value_kind:     global_buffer
      - .actual_access:  read_only
        .address_space:  global
        .offset:         88
        .size:           8
        .value_kind:     global_buffer
      - .actual_access:  write_only
        .address_space:  global
        .offset:         96
        .size:           8
        .value_kind:     global_buffer
    .group_segment_fixed_size: 0
    .kernarg_segment_align: 8
    .kernarg_segment_size: 104
    .language:       OpenCL C
    .language_version:
      - 2
      - 0
    .max_flat_workgroup_size: 64
    .name:           fft_rtc_back_len480_factors_10_8_6_wgs_64_tpt_16_halfLds_dp_op_CI_CI_sbrr_dirReg
    .private_segment_fixed_size: 0
    .sgpr_count:     38
    .sgpr_spill_count: 0
    .symbol:         fft_rtc_back_len480_factors_10_8_6_wgs_64_tpt_16_halfLds_dp_op_CI_CI_sbrr_dirReg.kd
    .uniform_work_group_size: 1
    .uses_dynamic_stack: false
    .vgpr_count:     256
    .vgpr_spill_count: 0
    .wavefront_size: 64
amdhsa.target:   amdgcn-amd-amdhsa--gfx950
amdhsa.version:
  - 1
  - 2
...

	.end_amdgpu_metadata
